;; amdgpu-corpus repo=ROCm/rocFFT kind=compiled arch=gfx1030 opt=O3
	.text
	.amdgcn_target "amdgcn-amd-amdhsa--gfx1030"
	.amdhsa_code_object_version 6
	.protected	bluestein_single_back_len78_dim1_half_op_CI_CI ; -- Begin function bluestein_single_back_len78_dim1_half_op_CI_CI
	.globl	bluestein_single_back_len78_dim1_half_op_CI_CI
	.p2align	8
	.type	bluestein_single_back_len78_dim1_half_op_CI_CI,@function
bluestein_single_back_len78_dim1_half_op_CI_CI: ; @bluestein_single_back_len78_dim1_half_op_CI_CI
; %bb.0:
	s_load_dwordx4 s[12:15], s[4:5], 0x28
	v_mul_u32_u24_e32 v1, 0x13b2, v0
	s_mov_b32 s0, exec_lo
	v_lshrrev_b32_e32 v1, 16, v1
	v_mad_u64_u32 v[12:13], null, s6, 19, v[1:2]
	v_mov_b32_e32 v13, 0
	s_waitcnt lgkmcnt(0)
	v_cmpx_gt_u64_e64 s[12:13], v[12:13]
	s_cbranch_execz .LBB0_10
; %bb.1:
	s_clause 0x1
	s_load_dwordx4 s[8:11], s[4:5], 0x18
	s_load_dwordx4 s[0:3], s[4:5], 0x0
	v_mul_lo_u16 v1, v1, 13
	s_load_dwordx2 s[4:5], s[4:5], 0x38
                                        ; implicit-def: $vgpr23
                                        ; implicit-def: $vgpr62
                                        ; implicit-def: $vgpr24
                                        ; implicit-def: $vgpr59
                                        ; implicit-def: $vgpr63
                                        ; implicit-def: $vgpr26
                                        ; implicit-def: $vgpr60
                                        ; implicit-def: $vgpr64
                                        ; implicit-def: $vgpr61
                                        ; implicit-def: $vgpr65
                                        ; implicit-def: $vgpr66
	v_sub_nc_u16 v7, v0, v1
	v_and_b32_e32 v36, 0xffff, v7
	v_lshlrev_b32_e32 v40, 2, v36
	s_waitcnt lgkmcnt(0)
	s_load_dwordx4 s[16:19], s[8:9], 0x0
	s_clause 0x2
	global_load_dword v38, v40, s[0:1]
	global_load_dword v37, v40, s[0:1] offset:52
	global_load_dword v35, v40, s[0:1] offset:104
	s_waitcnt lgkmcnt(0)
	v_mad_u64_u32 v[0:1], null, s18, v12, 0
	v_mad_u64_u32 v[2:3], null, s16, v36, 0
	s_mul_i32 s6, s17, 52
	s_mul_hi_u32 s7, s16, 52
	s_mul_i32 s8, s16, 52
	s_add_i32 s7, s7, s6
	v_mad_u64_u32 v[4:5], null, s19, v12, v[1:2]
	v_mad_u64_u32 v[5:6], null, s17, v36, v[3:4]
	v_mov_b32_e32 v1, v4
	v_lshlrev_b64 v[0:1], 2, v[0:1]
	v_mov_b32_e32 v3, v5
	v_add_co_u32 v0, vcc_lo, s14, v0
	v_lshlrev_b64 v[2:3], 2, v[2:3]
	v_add_co_ci_u32_e32 v1, vcc_lo, s15, v1, vcc_lo
	v_add_co_u32 v0, vcc_lo, v0, v2
	v_add_co_ci_u32_e32 v1, vcc_lo, v1, v3, vcc_lo
	v_add_co_u32 v2, vcc_lo, v0, s8
	v_add_co_ci_u32_e32 v3, vcc_lo, s7, v1, vcc_lo
	s_clause 0x1
	global_load_dword v4, v[0:1], off
	global_load_dword v5, v[2:3], off
	v_add_co_u32 v0, vcc_lo, v2, s8
	v_add_co_ci_u32_e32 v1, vcc_lo, s7, v3, vcc_lo
	v_add_co_u32 v2, vcc_lo, v0, s8
	v_add_co_ci_u32_e32 v3, vcc_lo, s7, v1, vcc_lo
	s_clause 0x1
	global_load_dword v6, v[0:1], off
	global_load_dword v8, v[2:3], off
	v_add_co_u32 v0, vcc_lo, v2, s8
	v_add_co_ci_u32_e32 v1, vcc_lo, s7, v3, vcc_lo
	v_add_co_u32 v2, vcc_lo, v0, s8
	v_add_co_ci_u32_e32 v3, vcc_lo, s7, v1, vcc_lo
	global_load_dword v34, v40, s[0:1] offset:156
	global_load_dword v0, v[0:1], off
	global_load_dword v1, v[2:3], off
	s_clause 0x1
	global_load_dword v32, v40, s[0:1] offset:208
	global_load_dword v31, v40, s[0:1] offset:260
	v_mul_hi_u32 v2, 0xaf286bcb, v12
	s_load_dwordx4 s[8:11], s[10:11], 0x0
	v_cmp_gt_u16_e32 vcc_lo, 6, v7
	v_sub_nc_u32_e32 v3, v12, v2
	v_lshrrev_b32_e32 v3, 1, v3
	v_add_nc_u32_e32 v2, v3, v2
	v_lshrrev_b32_e32 v2, 4, v2
	v_mul_lo_u32 v2, v2, 19
	v_sub_nc_u32_e32 v2, v12, v2
	v_mul_u32_u24_e32 v2, 0x4e, v2
	v_lshlrev_b32_e32 v39, 2, v2
	v_add_nc_u32_e32 v33, v40, v39
	s_waitcnt vmcnt(8)
	v_lshrrev_b32_e32 v3, 16, v4
	v_mul_f16_sdwa v2, v38, v4 dst_sel:DWORD dst_unused:UNUSED_PAD src0_sel:WORD_1 src1_sel:DWORD
	s_waitcnt vmcnt(7)
	v_lshrrev_b32_e32 v10, 16, v5
	v_mul_f16_sdwa v11, v37, v5 dst_sel:DWORD dst_unused:UNUSED_PAD src0_sel:WORD_1 src1_sel:DWORD
	v_mul_f16_sdwa v9, v38, v3 dst_sel:DWORD dst_unused:UNUSED_PAD src0_sel:WORD_1 src1_sel:DWORD
	v_fma_f16 v2, v38, v3, -v2
	v_fmac_f16_e32 v9, v38, v4
	v_mul_f16_sdwa v4, v37, v10 dst_sel:DWORD dst_unused:UNUSED_PAD src0_sel:WORD_1 src1_sel:DWORD
	v_fma_f16 v10, v37, v10, -v11
	s_waitcnt vmcnt(6)
	v_lshrrev_b32_e32 v3, 16, v6
	v_mul_f16_sdwa v11, v35, v6 dst_sel:DWORD dst_unused:UNUSED_PAD src0_sel:WORD_1 src1_sel:DWORD
	v_pack_b32_f16 v2, v9, v2
	v_fmac_f16_e32 v4, v37, v5
	s_waitcnt vmcnt(5)
	v_lshrrev_b32_e32 v5, 16, v8
	v_mul_f16_sdwa v9, v35, v3 dst_sel:DWORD dst_unused:UNUSED_PAD src0_sel:WORD_1 src1_sel:DWORD
	v_fma_f16 v3, v35, v3, -v11
	s_waitcnt vmcnt(4)
	v_mul_f16_sdwa v11, v34, v8 dst_sel:DWORD dst_unused:UNUSED_PAD src0_sel:WORD_1 src1_sel:DWORD
	v_fmac_f16_e32 v9, v35, v6
	s_waitcnt vmcnt(3)
	v_lshrrev_b32_e32 v6, 16, v0
	s_waitcnt vmcnt(2)
	v_lshrrev_b32_e32 v14, 16, v1
	v_mul_f16_sdwa v13, v34, v5 dst_sel:DWORD dst_unused:UNUSED_PAD src0_sel:WORD_1 src1_sel:DWORD
	v_fma_f16 v5, v34, v5, -v11
	s_waitcnt vmcnt(1)
	v_mul_f16_sdwa v11, v32, v0 dst_sel:DWORD dst_unused:UNUSED_PAD src0_sel:WORD_1 src1_sel:DWORD
	v_mul_f16_sdwa v15, v32, v6 dst_sel:DWORD dst_unused:UNUSED_PAD src0_sel:WORD_1 src1_sel:DWORD
	s_waitcnt vmcnt(0)
	v_mul_f16_sdwa v16, v31, v1 dst_sel:DWORD dst_unused:UNUSED_PAD src0_sel:WORD_1 src1_sel:DWORD
	v_mul_f16_sdwa v17, v31, v14 dst_sel:DWORD dst_unused:UNUSED_PAD src0_sel:WORD_1 src1_sel:DWORD
	v_fmac_f16_e32 v13, v34, v8
	v_fma_f16 v6, v32, v6, -v11
	v_fmac_f16_e32 v15, v32, v0
	v_fma_f16 v0, v31, v14, -v16
	v_fmac_f16_e32 v17, v31, v1
	v_pack_b32_f16 v1, v4, v10
	v_pack_b32_f16 v3, v9, v3
	;; [unrolled: 1-line block ×5, first 2 shown]
	ds_write2_b32 v33, v2, v1 offset1:13
	ds_write2_b32 v33, v3, v4 offset0:26 offset1:39
	ds_write2_b32 v33, v5, v0 offset0:52 offset1:65
	s_waitcnt lgkmcnt(0)
	s_barrier
	buffer_gl0_inv
	ds_read2_b32 v[0:1], v33 offset0:26 offset1:39
	ds_read2_b32 v[2:3], v33 offset0:52 offset1:65
	ds_read2_b32 v[4:5], v33 offset1:13
	v_mul_lo_u16 v6, v7, 6
	v_add_co_u32 v13, s6, s0, v40
	v_add_co_ci_u32_e64 v14, null, s1, 0, s6
	v_and_b32_e32 v6, 0xffff, v6
	s_waitcnt lgkmcnt(0)
	s_barrier
	buffer_gl0_inv
	v_lshl_add_u32 v41, v6, 2, v39
	v_pk_add_f16 v8, v1, v3
	v_pk_add_f16 v7, v1, v3 neg_lo:[0,1] neg_hi:[0,1]
	v_pk_add_f16 v1, v5, v1
	v_pk_fma_f16 v8, v8, 0.5, v5 op_sel_hi:[1,0,1] neg_lo:[1,0,0] neg_hi:[1,0,0]
	v_pk_add_f16 v5, v0, v2
	v_pk_add_f16 v1, v1, v3
	v_pk_fma_f16 v6, 0x3aee, v7, v8 op_sel:[0,0,1] op_sel_hi:[0,1,0]
	v_pk_fma_f16 v7, 0x3aee, v7, v8 op_sel:[0,0,1] op_sel_hi:[0,1,0] neg_lo:[0,1,0] neg_hi:[0,1,0]
	v_pk_add_f16 v8, v4, v0
	v_pk_add_f16 v0, v0, v2 neg_lo:[0,1] neg_hi:[0,1]
	v_pk_fma_f16 v4, v5, 0.5, v4 op_sel_hi:[1,0,1] neg_lo:[1,0,0] neg_hi:[1,0,0]
	v_bfi_b32 v9, 0xffff, v6, v7
	v_lshrrev_b32_e32 v6, 16, v6
	v_pk_add_f16 v2, v8, v2
	v_pk_mul_f16 v0, 0x3aee, v0 op_sel_hi:[0,1]
	v_mul_f16_e32 v3, 0x3aee, v7
	v_pk_mul_f16 v5, v9, 0.5 op_sel_hi:[1,0]
	v_mul_f16_e32 v8, 0xbaee, v6
	v_pk_add_f16 v15, v2, v1
	v_pk_add_f16 v10, v4, v0 op_sel:[0,1] op_sel_hi:[1,0]
	v_pk_add_f16 v0, v4, v0 op_sel:[0,1] op_sel_hi:[1,0] neg_lo:[0,1] neg_hi:[0,1]
	v_pk_fma_f16 v5, 0xbaee3aee, v9, v5 op_sel:[0,0,1] op_sel_hi:[1,1,0] neg_lo:[0,0,1] neg_hi:[0,0,1]
	v_fmac_f16_e32 v8, 0.5, v7
	v_fmac_f16_e32 v3, 0.5, v6
	v_pk_add_f16 v30, v2, v1 neg_lo:[0,1] neg_hi:[0,1]
	v_bfi_b32 v6, 0xffff, v0, v10
	v_add_f16_sdwa v54, v10, v5 dst_sel:DWORD dst_unused:UNUSED_PAD src0_sel:WORD_1 src1_sel:WORD_1
	v_pack_b32_f16 v4, v8, v5
	v_sub_f16_e32 v18, v10, v3
	v_sub_f16_sdwa v53, v0, v8 dst_sel:DWORD dst_unused:UNUSED_PAD src0_sel:WORD_1 src1_sel:DWORD
	v_add_f16_e32 v17, v10, v3
	v_pk_add_f16 v28, v6, v5 neg_lo:[0,1] neg_hi:[0,1]
	v_pk_add_f16 v55, v0, v4 op_sel:[1,0] op_sel_hi:[0,1]
	v_pack_b32_f16 v27, v18, v53
	v_lshrrev_b32_e32 v20, 16, v55
	v_alignbit_b32 v29, v54, v55, 16
	v_pack_b32_f16 v16, v17, v55
	ds_write_b64 v41, v[27:28] offset:16
	ds_write2_b64 v41, v[15:16], v[29:30] offset1:1
	s_waitcnt lgkmcnt(0)
	s_barrier
	buffer_gl0_inv
	s_and_saveexec_b32 s6, vcc_lo
	s_cbranch_execz .LBB0_3
; %bb.2:
	ds_read2_b32 v[16:17], v33 offset1:6
	ds_read2_b32 v[20:21], v33 offset0:12 offset1:18
	ds_read2_b32 v[18:19], v33 offset0:24 offset1:30
	;; [unrolled: 1-line block ×5, first 2 shown]
	ds_read_b32 v61, v33 offset:288
	s_waitcnt lgkmcnt(6)
	v_lshrrev_b32_e32 v55, 16, v17
	s_waitcnt lgkmcnt(5)
	v_lshrrev_b32_e32 v54, 16, v20
	;; [unrolled: 2-line block ×4, first 2 shown]
	v_lshrrev_b32_e32 v62, 16, v23
	s_waitcnt lgkmcnt(2)
	v_lshrrev_b32_e32 v59, 16, v24
	v_lshrrev_b32_e32 v63, 16, v25
	s_waitcnt lgkmcnt(1)
	v_lshrrev_b32_e32 v60, 16, v26
	;; [unrolled: 3-line block ×3, first 2 shown]
	v_mov_b32_e32 v15, v16
	v_mov_b32_e32 v28, v19
	;; [unrolled: 1-line block ×3, first 2 shown]
.LBB0_3:
	s_or_b32 exec_lo, exec_lo, s6
	v_and_b32_e32 v0, 0xff, v36
	v_lshrrev_b32_e32 v16, 16, v30
	v_lshrrev_b32_e32 v19, 16, v28
	v_mul_lo_u16 v0, 0xab, v0
	v_lshrrev_b16 v0, 10, v0
	v_mul_lo_u16 v0, v0, 6
	v_sub_nc_u16 v0, v36, v0
	v_mul_lo_u16 v0, v0, 12
	v_and_b32_e32 v0, 0xfc, v0
	v_lshlrev_b32_e32 v8, 2, v0
	s_clause 0x2
	global_load_dwordx4 v[4:7], v8, s[2:3]
	global_load_dwordx4 v[0:3], v8, s[2:3] offset:16
	global_load_dwordx4 v[8:11], v8, s[2:3] offset:32
	s_waitcnt vmcnt(2)
	v_mul_f16_sdwa v52, v17, v4 dst_sel:DWORD dst_unused:UNUSED_PAD src0_sel:DWORD src1_sel:WORD_1
	v_mul_f16_sdwa v21, v55, v4 dst_sel:DWORD dst_unused:UNUSED_PAD src0_sel:DWORD src1_sel:WORD_1
	s_waitcnt vmcnt(0)
	v_mul_f16_sdwa v46, v61, v11 dst_sel:DWORD dst_unused:UNUSED_PAD src0_sel:DWORD src1_sel:WORD_1
	v_mul_f16_sdwa v51, v20, v5 dst_sel:DWORD dst_unused:UNUSED_PAD src0_sel:DWORD src1_sel:WORD_1
	;; [unrolled: 1-line block ×7, first 2 shown]
	v_fmac_f16_e32 v52, v55, v4
	v_fmac_f16_e32 v46, v65, v11
	v_mul_f16_sdwa v56, v54, v5 dst_sel:DWORD dst_unused:UNUSED_PAD src0_sel:DWORD src1_sel:WORD_1
	v_mul_f16_sdwa v67, v16, v6 dst_sel:DWORD dst_unused:UNUSED_PAD src0_sel:DWORD src1_sel:WORD_1
	;; [unrolled: 1-line block ×7, first 2 shown]
	v_fma_f16 v58, v17, v4, -v21
	v_fmac_f16_e32 v51, v54, v5
	v_fmac_f16_e32 v50, v16, v6
	;; [unrolled: 1-line block ×3, first 2 shown]
	v_fma_f16 v53, v22, v1, -v70
	v_fma_f16 v22, v61, v11, -v76
	v_fmac_f16_e32 v44, v64, v10
	v_sub_f16_e32 v16, v52, v46
	v_mul_f16_sdwa v69, v19, v0 dst_sel:DWORD dst_unused:UNUSED_PAD src0_sel:DWORD src1_sel:WORD_1
	v_mul_f16_sdwa v72, v59, v3 dst_sel:DWORD dst_unused:UNUSED_PAD src0_sel:DWORD src1_sel:WORD_1
	;; [unrolled: 1-line block ×7, first 2 shown]
	v_fma_f16 v57, v20, v5, -v56
	v_fma_f16 v56, v30, v6, -v67
	v_fmac_f16_e32 v47, v66, v1
	v_fma_f16 v30, v23, v2, -v71
	v_fmac_f16_e32 v45, v62, v2
	v_fma_f16 v23, v27, v10, -v75
	v_add_f16_e32 v70, v58, v22
	v_sub_f16_e32 v17, v51, v44
	v_sub_f16_e32 v27, v58, v22
	v_mul_f16_e32 v64, 0xb3a8, v16
	v_mul_f16_e32 v77, 0xb770, v16
	v_mul_f16_sdwa v48, v28, v0 dst_sel:DWORD dst_unused:UNUSED_PAD src0_sel:DWORD src1_sel:WORD_1
	v_fma_f16 v55, v18, v7, -v68
	v_fma_f16 v54, v28, v0, -v69
	;; [unrolled: 1-line block ×4, first 2 shown]
	v_fmac_f16_e32 v29, v63, v8
	v_fma_f16 v24, v26, v9, -v74
	v_fmac_f16_e32 v43, v60, v9
	v_fmac_f16_e32 v42, v59, v3
	v_add_f16_e32 v69, v57, v23
	v_sub_f16_e32 v21, v47, v45
	v_add_f16_e32 v113, v52, v46
	v_sub_f16_e32 v59, v57, v23
	v_sub_f16_e32 v63, v53, v30
	v_mul_f16_e32 v89, 0xba95, v16
	v_mul_f16_e32 v97, 0xbbf1, v16
	;; [unrolled: 1-line block ×12, first 2 shown]
	v_fma_f16 v159, v70, 0xbbc4, -v64
	v_fmac_f16_e32 v64, 0xbbc4, v70
	v_fmamk_f16 v165, v70, 0x3b15, v77
	v_fmac_f16_e32 v48, v19, v0
	v_sub_f16_e32 v18, v50, v43
	v_sub_f16_e32 v19, v49, v29
	v_add_f16_e32 v109, v51, v44
	v_sub_f16_e32 v60, v56, v24
	v_sub_f16_e32 v61, v55, v25
	v_add_f16_e32 v110, v47, v45
	v_mul_f16_e32 v88, 0xbb7b, v17
	v_mul_f16_e32 v95, 0xb3a8, v17
	;; [unrolled: 1-line block ×17, first 2 shown]
	v_fmamk_f16 v27, v70, 0x388b, v89
	v_fmamk_f16 v59, v70, 0x2fb7, v97
	;; [unrolled: 1-line block ×4, first 2 shown]
	v_fma_f16 v160, v69, 0x3b15, -v65
	v_fmac_f16_e32 v65, 0x3b15, v69
	v_fmamk_f16 v166, v69, 0x388b, v75
	v_fma_f16 v167, v113, 0x3b15, -v82
	v_fma_f16 v169, v113, 0x388b, -v102
	v_fma_f16 v171, v113, 0x2fb7, -v119
	v_fma_f16 v173, v113, 0xb5ac, -v128
	v_fma_f16 v175, v113, 0xb9fd, -v136
	v_fmamk_f16 v177, v113, 0xbbc4, v16
	v_fma_f16 v16, v113, 0xbbc4, -v16
	v_add_f16_e32 v64, v15, v64
	v_add_f16_e32 v165, v15, v165
	;; [unrolled: 1-line block ×3, first 2 shown]
	v_sub_f16_e32 v20, v48, v42
	v_add_f16_e32 v106, v50, v43
	v_sub_f16_e32 v62, v54, v28
	v_mul_f16_e32 v87, 0xb3a8, v18
	v_mul_f16_e32 v94, 0x3b7b, v18
	;; [unrolled: 1-line block ×24, first 2 shown]
	v_fmamk_f16 v60, v69, 0xb5ac, v88
	v_fmamk_f16 v61, v69, 0xbbc4, v95
	;; [unrolled: 1-line block ×4, first 2 shown]
	v_fma_f16 v168, v109, 0x388b, -v76
	v_fma_f16 v170, v109, 0xb5ac, -v100
	;; [unrolled: 1-line block ×5, first 2 shown]
	v_fmamk_f16 v178, v109, 0x3b15, v17
	v_fma_f16 v17, v109, 0x3b15, -v17
	v_add_f16_e32 v27, v15, v27
	v_add_f16_e32 v59, v15, v59
	;; [unrolled: 1-line block ×7, first 2 shown]
	v_fmamk_f16 v165, v110, 0x2fb7, v21
	v_fma_f16 v166, v110, 0x2fb7, -v21
	v_add_f16_sdwa v21, v15, v167 dst_sel:DWORD dst_unused:UNUSED_PAD src0_sel:WORD_1 src1_sel:DWORD
	v_add_f16_sdwa v167, v15, v169 dst_sel:DWORD dst_unused:UNUSED_PAD src0_sel:WORD_1 src1_sel:DWORD
	;; [unrolled: 1-line block ×7, first 2 shown]
	v_add_f16_e32 v26, v55, v25
	v_add_f16_e32 v108, v49, v29
	v_mul_f16_e32 v73, 0x3bf1, v20
	v_mul_f16_e32 v92, 0xba95, v20
	;; [unrolled: 1-line block ×17, first 2 shown]
	v_fmamk_f16 v62, v67, 0xbbc4, v87
	v_fmamk_f16 v63, v67, 0xb5ac, v94
	;; [unrolled: 1-line block ×4, first 2 shown]
	v_fma_f16 v161, v67, 0xb9fd, -v137
	v_fmac_f16_e32 v137, 0xb9fd, v67
	v_fmamk_f16 v179, v67, 0x2fb7, v78
	v_fma_f16 v180, v106, 0x2fb7, -v84
	v_fma_f16 v181, v106, 0xbbc4, -v98
	;; [unrolled: 1-line block ×5, first 2 shown]
	v_fmamk_f16 v185, v106, 0xb9fd, v18
	v_fma_f16 v18, v106, 0xb9fd, -v18
	v_add_f16_e32 v27, v60, v27
	v_add_f16_e32 v59, v61, v59
	;; [unrolled: 1-line block ×14, first 2 shown]
	v_fmamk_f16 v141, v26, 0xb9fd, v74
	v_fmamk_f16 v142, v26, 0x3b15, v93
	;; [unrolled: 1-line block ×4, first 2 shown]
	v_fma_f16 v162, v26, 0x388b, -v138
	v_fmac_f16_e32 v138, 0x388b, v26
	v_fmamk_f16 v186, v26, 0xb5ac, v80
	v_fma_f16 v187, v108, 0xb5ac, -v83
	v_fma_f16 v188, v108, 0xb9fd, -v99
	;; [unrolled: 1-line block ×5, first 2 shown]
	v_fmamk_f16 v192, v108, 0x388b, v19
	v_fma_f16 v19, v108, 0x388b, -v19
	v_add_f16_e32 v17, v62, v27
	v_add_f16_e32 v27, v63, v59
	;; [unrolled: 1-line block ×15, first 2 shown]
	v_fmamk_f16 v143, v66, 0x2fb7, v73
	v_fmamk_f16 v144, v66, 0x388b, v92
	;; [unrolled: 1-line block ×4, first 2 shown]
	v_fma_f16 v163, v66, 0xb5ac, -v139
	v_fmac_f16_e32 v139, 0xb5ac, v66
	v_fmamk_f16 v193, v66, 0xb9fd, v79
	v_fma_f16 v194, v107, 0xb9fd, -v85
	v_fma_f16 v195, v107, 0x2fb7, -v90
	;; [unrolled: 1-line block ×5, first 2 shown]
	v_fmamk_f16 v199, v107, 0xb5ac, v20
	v_fma_f16 v20, v107, 0xb5ac, -v20
	v_add_f16_e32 v17, v141, v17
	v_add_f16_e32 v18, v142, v27
	;; [unrolled: 1-line block ×14, first 2 shown]
	v_fmamk_f16 v145, v68, 0x3b15, v72
	v_fmamk_f16 v146, v68, 0xb9fd, v71
	;; [unrolled: 1-line block ×4, first 2 shown]
	v_fma_f16 v164, v68, 0x2fb7, -v140
	v_fmac_f16_e32 v140, 0x2fb7, v68
	v_fmamk_f16 v60, v68, 0xbbc4, v81
	v_fma_f16 v61, v110, 0xbbc4, -v86
	v_fma_f16 v148, v110, 0x3b15, -v91
	v_fma_f16 v150, v110, 0xb9fd, -v111
	v_fma_f16 v160, v110, 0x388b, -v123
	v_fma_f16 v200, v110, 0xb5ac, -v132
	v_add_f16_e32 v17, v143, v17
	v_add_f16_e32 v18, v144, v18
	;; [unrolled: 1-line block ×28, first 2 shown]
	s_and_saveexec_b32 s2, vcc_lo
	s_cbranch_execz .LBB0_5
; %bb.4:
	v_mul_f16_e32 v138, 0x3b15, v113
	v_mul_f16_e32 v140, 0x388b, v113
	;; [unrolled: 1-line block ×15, first 2 shown]
	v_add_f16_e32 v113, v136, v113
	v_mul_f16_e32 v145, 0x388b, v69
	v_mul_f16_e32 v147, 0xb5ac, v69
	;; [unrolled: 1-line block ×5, first 2 shown]
	v_add_f16_sdwa v113, v15, v113 dst_sel:DWORD dst_unused:UNUSED_PAD src0_sel:WORD_1 src1_sel:DWORD
	v_add_f16_e32 v109, v133, v109
	v_mul_f16_e32 v133, 0x388b, v106
	v_sub_f16_e32 v70, v70, v130
	v_sub_f16_e32 v89, v139, v89
	v_mul_f16_e32 v153, 0x2fb7, v67
	v_mul_f16_e32 v155, 0xbbc4, v67
	;; [unrolled: 1-line block ×5, first 2 shown]
	v_add_f16_e32 v109, v109, v113
	v_add_f16_e32 v113, v134, v133
	v_mul_f16_e32 v134, 0xbbc4, v108
	v_sub_f16_e32 v69, v69, v129
	v_add_f16_e32 v70, v15, v70
	v_add_f16_e32 v89, v15, v89
	v_sub_f16_e32 v88, v147, v88
	v_add_f16_e32 v58, v15, v58
	v_add_f16_sdwa v52, v15, v52 dst_sel:DWORD dst_unused:UNUSED_PAD src0_sel:WORD_1 src1_sel:DWORD
	v_mul_f16_e32 v159, 0xb5ac, v26
	v_mul_f16_e32 v160, 0xb9fd, v26
	v_add_f16_e32 v109, v113, v109
	v_mul_f16_e32 v113, 0x3b15, v26
	v_add_f16_e32 v134, v135, v134
	v_mul_f16_e32 v130, 0x2fb7, v26
	v_mul_f16_e32 v26, 0xbbc4, v26
	v_add_f16_e32 v69, v69, v70
	v_mul_f16_e32 v70, 0xb5ac, v110
	v_sub_f16_e32 v67, v67, v124
	v_add_f16_e32 v128, v128, v144
	v_add_f16_e32 v88, v88, v89
	v_sub_f16_e32 v87, v155, v87
	v_add_f16_e32 v57, v58, v57
	v_add_f16_e32 v51, v52, v51
	v_mul_f16_e32 v154, 0x2fb7, v106
	v_mul_f16_e32 v136, 0xbbc4, v106
	;; [unrolled: 1-line block ×4, first 2 shown]
	v_add_f16_e32 v109, v134, v109
	v_mul_f16_e32 v134, 0xb9fd, v66
	v_mul_f16_e32 v124, 0x2fb7, v66
	v_add_f16_e32 v70, v132, v70
	v_mul_f16_e32 v132, 0x388b, v66
	v_add_f16_e32 v67, v67, v69
	v_mul_f16_e32 v144, 0xbbc4, v66
	v_mul_f16_e32 v66, 0x3b15, v66
	v_sub_f16_e32 v26, v26, v121
	v_add_f16_e32 v125, v125, v152
	v_add_f16_sdwa v128, v15, v128 dst_sel:DWORD dst_unused:UNUSED_PAD src0_sel:WORD_1 src1_sel:DWORD
	v_sub_f16_e32 v97, v141, v97
	v_add_f16_e32 v87, v87, v88
	v_sub_f16_e32 v52, v160, v74
	v_add_f16_e32 v56, v57, v56
	v_add_f16_e32 v50, v51, v50
	v_mul_f16_e32 v133, 0xb5ac, v108
	v_mul_f16_e32 v161, 0xb9fd, v108
	;; [unrolled: 1-line block ×4, first 2 shown]
	v_add_f16_e32 v26, v26, v67
	v_add_f16_e32 v125, v125, v128
	;; [unrolled: 1-line block ×3, first 2 shown]
	v_sub_f16_e32 v66, v66, v120
	v_add_f16_e32 v97, v15, v97
	v_sub_f16_e32 v95, v149, v95
	v_add_f16_e32 v51, v52, v87
	;; [unrolled: 2-line block ×3, first 2 shown]
	v_add_f16_e32 v49, v50, v49
	v_add_f16_e32 v106, v106, v125
	;; [unrolled: 1-line block ×4, first 2 shown]
	v_sub_f16_e32 v66, v143, v112
	v_add_f16_e32 v112, v119, v142
	v_add_f16_e32 v95, v95, v97
	v_sub_f16_e32 v94, v156, v94
	v_add_f16_e32 v97, v102, v140
	v_add_f16_e32 v50, v82, v138
	;; [unrolled: 1-line block ×3, first 2 shown]
	v_sub_f16_e32 v52, v137, v77
	v_add_f16_e32 v54, v55, v54
	v_add_f16_e32 v48, v49, v48
	v_add_f16_e32 v106, v108, v106
	v_add_f16_e32 v66, v15, v66
	v_add_f16_sdwa v108, v15, v112 dst_sel:DWORD dst_unused:UNUSED_PAD src0_sel:WORD_1 src1_sel:DWORD
	v_add_f16_e32 v94, v94, v95
	v_add_f16_sdwa v95, v15, v97 dst_sel:DWORD dst_unused:UNUSED_PAD src0_sel:WORD_1 src1_sel:DWORD
	v_add_f16_sdwa v49, v15, v50 dst_sel:DWORD dst_unused:UNUSED_PAD src0_sel:WORD_1 src1_sel:DWORD
	v_add_f16_e32 v15, v15, v52
	v_add_f16_e32 v52, v54, v53
	;; [unrolled: 1-line block ×3, first 2 shown]
	v_mul_f16_e32 v129, 0x3b15, v107
	v_sub_f16_e32 v93, v113, v93
	v_add_f16_e32 v97, v100, v148
	v_add_f16_e32 v50, v76, v146
	v_sub_f16_e32 v48, v145, v75
	v_add_f16_e32 v30, v52, v30
	v_add_f16_e32 v45, v47, v45
	;; [unrolled: 1-line block ×3, first 2 shown]
	v_sub_f16_e32 v105, v151, v105
	v_add_f16_e32 v112, v116, v150
	v_add_f16_e32 v93, v93, v94
	v_sub_f16_e32 v92, v132, v92
	v_add_f16_e32 v94, v97, v95
	v_add_f16_e32 v95, v98, v136
	;; [unrolled: 1-line block ×5, first 2 shown]
	v_sub_f16_e32 v47, v153, v78
	v_add_f16_e32 v28, v30, v28
	v_add_f16_e32 v30, v45, v42
	v_mul_f16_e32 v131, 0xb9fd, v107
	v_add_f16_e32 v109, v129, v109
	v_mul_f16_e32 v129, 0x2fb7, v107
	v_add_f16_e32 v66, v105, v66
	v_sub_f16_e32 v104, v158, v104
	v_add_f16_e32 v105, v112, v108
	v_add_f16_e32 v108, v117, v157
	;; [unrolled: 1-line block ×8, first 2 shown]
	v_sub_f16_e32 v45, v159, v80
	v_add_f16_e32 v25, v28, v25
	v_add_f16_e32 v28, v30, v29
	v_mul_f16_e32 v69, 0x388b, v107
	v_mul_f16_e32 v107, 0xbbc4, v107
	;; [unrolled: 1-line block ×4, first 2 shown]
	v_add_f16_e32 v70, v70, v109
	v_mul_f16_e32 v109, 0x3b15, v68
	v_mul_f16_e32 v67, 0x3b15, v110
	v_add_f16_e32 v66, v104, v66
	v_sub_f16_e32 v103, v130, v103
	v_add_f16_e32 v104, v108, v105
	v_add_f16_e32 v105, v114, v135
	;; [unrolled: 1-line block ×9, first 2 shown]
	v_sub_f16_e32 v28, v134, v79
	v_mul_f16_e32 v128, 0xb9fd, v68
	v_mul_f16_e32 v126, 0xb9fd, v110
	;; [unrolled: 1-line block ×4, first 2 shown]
	v_add_f16_e32 v107, v122, v107
	v_add_f16_e32 v66, v103, v66
	v_sub_f16_e32 v101, v144, v101
	v_add_f16_e32 v103, v105, v104
	v_add_f16_e32 v69, v115, v69
	;; [unrolled: 1-line block ×9, first 2 shown]
	v_sub_f16_e32 v25, v121, v81
	v_sub_f16_e32 v28, v109, v72
	v_mul_f16_e32 v68, 0xb5ac, v68
	v_add_f16_e32 v106, v107, v106
	v_add_f16_e32 v107, v123, v110
	;; [unrolled: 1-line block ×3, first 2 shown]
	v_sub_f16_e32 v96, v120, v96
	v_add_f16_e32 v69, v69, v103
	v_add_f16_e32 v100, v111, v126
	;; [unrolled: 1-line block ×8, first 2 shown]
	v_sub_f16_e32 v28, v128, v71
	v_sub_f16_e32 v68, v68, v118
	v_add_f16_e32 v106, v107, v106
	v_add_f16_e32 v69, v100, v69
	v_pack_b32_f16 v22, v22, v23
	v_pack_b32_f16 v15, v15, v24
	;; [unrolled: 1-line block ×3, first 2 shown]
	v_add_f16_e32 v25, v28, v92
	v_add_f16_e32 v28, v96, v66
	v_lshl_add_u32 v23, v36, 2, v39
	v_add_f16_e32 v26, v68, v26
	ds_write_b32 v33, v22
	ds_write2_b32 v23, v15, v24 offset0:6 offset1:12
	v_pack_b32_f16 v15, v25, v69
	v_pack_b32_f16 v22, v28, v106
	;; [unrolled: 1-line block ×3, first 2 shown]
	v_perm_b32 v25, v59, v16, 0x5040100
	v_perm_b32 v26, v27, v17, 0x5040100
	;; [unrolled: 1-line block ×7, first 2 shown]
	ds_write2_b32 v23, v15, v22 offset0:18 offset1:24
	ds_write2_b32 v23, v24, v25 offset0:30 offset1:36
	;; [unrolled: 1-line block ×5, first 2 shown]
.LBB0_5:
	s_or_b32 exec_lo, exec_lo, s2
	s_waitcnt lgkmcnt(0)
	s_barrier
	buffer_gl0_inv
	global_load_dword v15, v[13:14], off offset:312
	s_add_u32 s0, s0, 0x138
	s_addc_u32 s1, s1, 0
	s_clause 0x4
	global_load_dword v26, v40, s[0:1] offset:52
	global_load_dword v28, v40, s[0:1] offset:104
	;; [unrolled: 1-line block ×5, first 2 shown]
	ds_read2_b32 v[13:14], v33 offset1:13
	s_waitcnt lgkmcnt(0)
	v_lshrrev_b32_e32 v22, 16, v13
	s_waitcnt vmcnt(4)
	v_mul_f16_sdwa v42, v14, v26 dst_sel:DWORD dst_unused:UNUSED_PAD src0_sel:DWORD src1_sel:WORD_1
	v_mul_f16_sdwa v23, v22, v15 dst_sel:DWORD dst_unused:UNUSED_PAD src0_sel:DWORD src1_sel:WORD_1
	;; [unrolled: 1-line block ×3, first 2 shown]
	v_fma_f16 v13, v13, v15, -v23
	v_fmac_f16_e32 v24, v22, v15
	v_pack_b32_f16 v13, v13, v24
	ds_write_b32 v33, v13
	ds_read2_b32 v[22:23], v33 offset0:26 offset1:39
	ds_read2_b32 v[24:25], v33 offset0:52 offset1:65
	v_lshrrev_b32_e32 v13, 16, v14
	v_mul_f16_sdwa v15, v13, v26 dst_sel:DWORD dst_unused:UNUSED_PAD src0_sel:DWORD src1_sel:WORD_1
	v_fmac_f16_e32 v42, v13, v26
	v_fma_f16 v14, v14, v26, -v15
	v_pack_b32_f16 v14, v14, v42
	s_waitcnt lgkmcnt(1)
	v_lshrrev_b32_e32 v13, 16, v22
	s_waitcnt vmcnt(3)
	v_mul_f16_sdwa v15, v22, v28 dst_sel:DWORD dst_unused:UNUSED_PAD src0_sel:DWORD src1_sel:WORD_1
	v_lshrrev_b32_e32 v26, 16, v23
	s_waitcnt vmcnt(2)
	v_mul_f16_sdwa v43, v23, v29 dst_sel:DWORD dst_unused:UNUSED_PAD src0_sel:DWORD src1_sel:WORD_1
	s_waitcnt lgkmcnt(0)
	v_lshrrev_b32_e32 v44, 16, v24
	s_waitcnt vmcnt(1)
	v_mul_f16_sdwa v45, v24, v30 dst_sel:DWORD dst_unused:UNUSED_PAD src0_sel:DWORD src1_sel:WORD_1
	v_lshrrev_b32_e32 v46, 16, v25
	v_mul_f16_sdwa v48, v13, v28 dst_sel:DWORD dst_unused:UNUSED_PAD src0_sel:DWORD src1_sel:WORD_1
	v_fmac_f16_e32 v15, v13, v28
	v_mul_f16_sdwa v13, v26, v29 dst_sel:DWORD dst_unused:UNUSED_PAD src0_sel:DWORD src1_sel:WORD_1
	v_fmac_f16_e32 v43, v26, v29
	v_mul_f16_sdwa v26, v44, v30 dst_sel:DWORD dst_unused:UNUSED_PAD src0_sel:DWORD src1_sel:WORD_1
	s_waitcnt vmcnt(0)
	v_mul_f16_sdwa v47, v25, v40 dst_sel:DWORD dst_unused:UNUSED_PAD src0_sel:DWORD src1_sel:WORD_1
	v_fmac_f16_e32 v45, v44, v30
	v_mul_f16_sdwa v44, v46, v40 dst_sel:DWORD dst_unused:UNUSED_PAD src0_sel:DWORD src1_sel:WORD_1
	v_fma_f16 v22, v22, v28, -v48
	v_fma_f16 v13, v23, v29, -v13
	;; [unrolled: 1-line block ×3, first 2 shown]
	v_fmac_f16_e32 v47, v46, v40
	v_fma_f16 v24, v25, v40, -v44
	v_pack_b32_f16 v15, v22, v15
	v_pack_b32_f16 v13, v13, v43
	;; [unrolled: 1-line block ×4, first 2 shown]
	ds_write2_b32 v33, v14, v15 offset0:13 offset1:26
	ds_write2_b32 v33, v13, v22 offset0:39 offset1:52
	ds_write_b32 v33, v23 offset:260
	s_waitcnt lgkmcnt(0)
	s_barrier
	buffer_gl0_inv
	ds_read2_b32 v[13:14], v33 offset0:26 offset1:39
	ds_read2_b32 v[22:23], v33 offset0:52 offset1:65
	ds_read2_b32 v[24:25], v33 offset1:13
	s_waitcnt lgkmcnt(0)
	s_barrier
	buffer_gl0_inv
	v_pk_add_f16 v15, v14, v23
	v_pk_add_f16 v28, v13, v22
	v_pk_add_f16 v29, v14, v23 neg_lo:[0,1] neg_hi:[0,1]
	v_pk_add_f16 v26, v24, v13
	v_pk_add_f16 v14, v25, v14
	v_pk_fma_f16 v15, v15, 0.5, v25 op_sel_hi:[1,0,1] neg_lo:[1,0,0] neg_hi:[1,0,0]
	v_pk_add_f16 v13, v13, v22 neg_lo:[0,1] neg_hi:[0,1]
	v_pk_fma_f16 v24, v28, 0.5, v24 op_sel_hi:[1,0,1] neg_lo:[1,0,0] neg_hi:[1,0,0]
	v_pk_add_f16 v22, v26, v22
	v_pk_add_f16 v14, v14, v23
	v_pk_fma_f16 v25, 0x3aee, v29, v15 op_sel:[0,0,1] op_sel_hi:[0,1,0] neg_lo:[0,1,0] neg_hi:[0,1,0]
	v_pk_fma_f16 v15, 0x3aee, v29, v15 op_sel:[0,0,1] op_sel_hi:[0,1,0]
	v_pk_fma_f16 v23, 0x3aee, v13, v24 op_sel:[0,0,1] op_sel_hi:[0,1,0] neg_lo:[0,1,0] neg_hi:[0,1,0]
	v_pk_fma_f16 v24, 0x3aee, v13, v24 op_sel:[0,0,1] op_sel_hi:[0,1,0]
	v_pk_mul_f16 v13, 0x3aee, v25 op_sel_hi:[0,1]
	v_lshrrev_b32_e32 v26, 16, v25
	v_lshrrev_b32_e32 v28, 16, v15
	v_mul_f16_e32 v25, -0.5, v25
	v_mul_f16_e32 v29, 0x3aee, v15
	v_pk_fma_f16 v40, 0xb8003800, v15, v13 op_sel:[0,0,1] op_sel_hi:[1,1,0]
	v_pk_fma_f16 v15, 0xb8003800, v15, v13 op_sel:[0,0,1] op_sel_hi:[1,1,0] neg_lo:[0,0,1] neg_hi:[0,0,1]
	v_alignbit_b32 v42, v23, v24, 16
	v_fmac_f16_e32 v25, 0x3aee, v28
	v_fma_f16 v26, v26, 0.5, -v29
	v_alignbit_b32 v28, v24, v23, 16
	v_bfi_b32 v29, 0xffff, v40, v15
	v_pk_add_f16 v13, v22, v14
	v_add_f16_e32 v30, v23, v25
	v_pack_b32_f16 v43, v26, v40
	v_alignbit_b32 v25, v25, v15, 16
	v_pk_add_f16 v40, v24, v29
	v_add_f16_sdwa v15, v23, v26 dst_sel:DWORD dst_unused:UNUSED_PAD src0_sel:WORD_1 src1_sel:DWORD
	v_pk_add_f16 v26, v22, v14 neg_lo:[0,1] neg_hi:[0,1]
	v_pk_add_f16 v22, v28, v43 neg_lo:[0,1] neg_hi:[0,1]
	;; [unrolled: 1-line block ×3, first 2 shown]
	v_lshrrev_b32_e32 v24, 16, v40
	v_alignbit_b32 v25, v30, v40, 16
	v_pack_b32_f16 v14, v15, v40
	v_lshrrev_b32_e32 v29, 16, v22
	v_lshrrev_b32_e32 v28, 16, v23
	ds_write_b64 v41, v[22:23] offset:16
	ds_write2_b64 v41, v[13:14], v[25:26] offset1:1
	s_waitcnt lgkmcnt(0)
	s_barrier
	buffer_gl0_inv
	s_and_saveexec_b32 s0, vcc_lo
	s_cbranch_execz .LBB0_7
; %bb.6:
	ds_read2_b32 v[14:15], v33 offset1:6
	ds_read2_b32 v[24:25], v33 offset0:12 offset1:18
	ds_read2_b32 v[22:23], v33 offset0:24 offset1:30
	;; [unrolled: 1-line block ×5, first 2 shown]
	ds_read_b32 v63, v33 offset:288
	s_waitcnt lgkmcnt(6)
	v_lshrrev_b32_e32 v40, 16, v15
	s_waitcnt lgkmcnt(5)
	v_lshrrev_b32_e32 v30, 16, v24
	;; [unrolled: 2-line block ×3, first 2 shown]
	v_lshrrev_b32_e32 v28, 16, v23
	s_waitcnt lgkmcnt(3)
	v_lshrrev_b32_e32 v59, 16, v16
	v_lshrrev_b32_e32 v27, 16, v17
	s_waitcnt lgkmcnt(2)
	v_lshrrev_b32_e32 v60, 16, v18
	;; [unrolled: 3-line block ×4, first 2 shown]
	v_mov_b32_e32 v13, v14
	v_mov_b32_e32 v26, v25
.LBB0_7:
	s_or_b32 exec_lo, exec_lo, s0
	s_and_saveexec_b32 s0, vcc_lo
	s_cbranch_execz .LBB0_9
; %bb.8:
	v_mul_f16_sdwa v14, v11, v63 dst_sel:DWORD dst_unused:UNUSED_PAD src0_sel:WORD_1 src1_sel:DWORD
	v_mul_f16_sdwa v41, v4, v15 dst_sel:DWORD dst_unused:UNUSED_PAD src0_sel:WORD_1 src1_sel:DWORD
	;; [unrolled: 1-line block ×5, first 2 shown]
	v_fma_f16 v25, v11, v65, -v14
	v_fma_f16 v41, v4, v40, -v41
	v_mul_f16_sdwa v40, v4, v40 dst_sel:DWORD dst_unused:UNUSED_PAD src0_sel:WORD_1 src1_sel:DWORD
	v_fma_f16 v42, v10, v64, -v42
	v_fma_f16 v43, v5, v30, -v43
	v_mul_f16_sdwa v30, v5, v30 dst_sel:DWORD dst_unused:UNUSED_PAD src0_sel:WORD_1 src1_sel:DWORD
	v_add_f16_e32 v45, v25, v41
	v_mul_f16_sdwa v46, v10, v64 dst_sel:DWORD dst_unused:UNUSED_PAD src0_sel:WORD_1 src1_sel:DWORD
	v_fmac_f16_e32 v40, v4, v15
	v_fmac_f16_e32 v44, v11, v63
	v_add_f16_e32 v47, v42, v43
	v_fmac_f16_e32 v30, v5, v24
	v_fmac_f16_e32 v46, v10, v21
	v_mul_f16_e32 v24, 0xbbc4, v45
	v_sub_f16_e32 v5, v40, v44
	v_mul_f16_e32 v21, 0x3b15, v47
	v_mul_f16_sdwa v14, v9, v20 dst_sel:DWORD dst_unused:UNUSED_PAD src0_sel:WORD_1 src1_sel:DWORD
	v_sub_f16_e32 v4, v30, v46
	v_lshrrev_b32_e32 v15, 16, v26
	v_fmamk_f16 v10, v5, 0x33a8, v24
	v_mul_f16_sdwa v48, v6, v26 dst_sel:DWORD dst_unused:UNUSED_PAD src0_sel:WORD_1 src1_sel:DWORD
	v_fma_f16 v49, v9, v62, -v14
	v_fmamk_f16 v11, v4, 0xb770, v21
	v_mul_f16_sdwa v50, v6, v15 dst_sel:DWORD dst_unused:UNUSED_PAD src0_sel:WORD_1 src1_sel:DWORD
	v_add_f16_sdwa v10, v13, v10 dst_sel:DWORD dst_unused:UNUSED_PAD src0_sel:WORD_1 src1_sel:DWORD
	v_fma_f16 v48, v6, v15, -v48
	v_mul_f16_sdwa v51, v9, v62 dst_sel:DWORD dst_unused:UNUSED_PAD src0_sel:WORD_1 src1_sel:DWORD
	v_mul_f16_sdwa v14, v7, v22 dst_sel:DWORD dst_unused:UNUSED_PAD src0_sel:WORD_1 src1_sel:DWORD
	v_fmac_f16_e32 v50, v6, v26
	v_add_f16_e32 v10, v11, v10
	v_mul_f16_sdwa v11, v8, v19 dst_sel:DWORD dst_unused:UNUSED_PAD src0_sel:WORD_1 src1_sel:DWORD
	v_add_f16_e32 v52, v49, v48
	v_fmac_f16_e32 v51, v9, v20
	v_fma_f16 v26, v7, v29, -v14
	v_mul_f16_sdwa v29, v7, v29 dst_sel:DWORD dst_unused:UNUSED_PAD src0_sel:WORD_1 src1_sel:DWORD
	v_fma_f16 v20, v8, v61, -v11
	v_mul_f16_sdwa v53, v8, v61 dst_sel:DWORD dst_unused:UNUSED_PAD src0_sel:WORD_1 src1_sel:DWORD
	v_mul_f16_sdwa v9, v0, v23 dst_sel:DWORD dst_unused:UNUSED_PAD src0_sel:WORD_1 src1_sel:DWORD
	v_mul_f16_e32 v54, 0xb9fd, v52
	v_sub_f16_e32 v6, v50, v51
	v_add_f16_e32 v55, v20, v26
	v_fmac_f16_e32 v29, v7, v22
	v_fmac_f16_e32 v53, v8, v19
	v_mul_f16_sdwa v8, v3, v18 dst_sel:DWORD dst_unused:UNUSED_PAD src0_sel:WORD_1 src1_sel:DWORD
	v_fma_f16 v56, v0, v28, -v9
	v_mul_f16_sdwa v28, v0, v28 dst_sel:DWORD dst_unused:UNUSED_PAD src0_sel:WORD_1 src1_sel:DWORD
	v_mul_f16_sdwa v57, v3, v60 dst_sel:DWORD dst_unused:UNUSED_PAD src0_sel:WORD_1 src1_sel:DWORD
	v_fmamk_f16 v11, v6, 0x394e, v54
	v_mul_f16_e32 v19, 0x388b, v55
	v_sub_f16_e32 v7, v29, v53
	v_fma_f16 v22, v3, v60, -v8
	v_fmac_f16_e32 v28, v0, v23
	v_fmac_f16_e32 v57, v3, v18
	v_mul_f16_sdwa v3, v2, v17 dst_sel:DWORD dst_unused:UNUSED_PAD src0_sel:WORD_1 src1_sel:DWORD
	v_sub_f16_e32 v23, v41, v25
	v_add_f16_e32 v8, v11, v10
	v_fmamk_f16 v9, v7, 0xba95, v19
	v_sub_f16_e32 v63, v43, v42
	v_fma_f16 v60, v2, v27, -v3
	v_add_f16_e32 v3, v44, v40
	v_mul_f16_e32 v62, 0xb3a8, v23
	v_mul_f16_sdwa v10, v1, v16 dst_sel:DWORD dst_unused:UNUSED_PAD src0_sel:WORD_1 src1_sel:DWORD
	v_add_f16_e32 v14, v9, v8
	v_add_f16_e32 v8, v46, v30
	v_mul_f16_e32 v65, 0x3770, v63
	v_fmamk_f16 v9, v3, 0xbbc4, v62
	v_sub_f16_e32 v66, v48, v49
	v_add_f16_e32 v58, v22, v56
	v_fma_f16 v61, v1, v59, -v10
	v_mul_f16_sdwa v59, v1, v59 dst_sel:DWORD dst_unused:UNUSED_PAD src0_sel:WORD_1 src1_sel:DWORD
	v_mul_f16_sdwa v27, v2, v27 dst_sel:DWORD dst_unused:UNUSED_PAD src0_sel:WORD_1 src1_sel:DWORD
	v_add_f16_e32 v10, v13, v9
	v_fmamk_f16 v11, v8, 0x3b15, v65
	v_add_f16_e32 v9, v51, v50
	v_mul_f16_e32 v67, 0xb94e, v66
	v_sub_f16_e32 v68, v26, v20
	v_mul_f16_e32 v18, 0xb5ac, v58
	v_sub_f16_e32 v0, v28, v57
	v_add_f16_e32 v64, v60, v61
	v_fmac_f16_e32 v59, v1, v16
	v_fmac_f16_e32 v27, v2, v17
	v_add_f16_e32 v2, v11, v10
	v_fmamk_f16 v11, v9, 0xb9fd, v67
	v_add_f16_e32 v10, v53, v29
	v_mul_f16_e32 v69, 0x3a95, v68
	v_sub_f16_e32 v71, v56, v22
	v_fmamk_f16 v15, v0, 0x3b7b, v18
	v_mul_f16_e32 v70, 0x2fb7, v64
	v_sub_f16_e32 v1, v59, v27
	v_add_f16_e32 v2, v11, v2
	v_fmamk_f16 v16, v10, 0x388b, v69
	v_add_f16_e32 v11, v57, v28
	v_mul_f16_e32 v72, 0xbb7b, v71
	v_mul_f16_e32 v73, 0xb9fd, v45
	v_add_f16_e32 v14, v15, v14
	v_fmamk_f16 v15, v1, 0xbbf1, v70
	v_add_f16_e32 v16, v16, v2
	v_fmamk_f16 v17, v11, 0xb5ac, v72
	v_fmamk_f16 v74, v5, 0x394e, v73
	v_mul_f16_e32 v75, 0x2fb7, v47
	v_add_f16_e32 v2, v15, v14
	v_sub_f16_e32 v76, v61, v60
	v_add_f16_e32 v15, v17, v16
	v_add_f16_sdwa v16, v13, v74 dst_sel:DWORD dst_unused:UNUSED_PAD src0_sel:WORD_1 src1_sel:DWORD
	v_fmamk_f16 v17, v4, 0xbbf1, v75
	v_mul_f16_e32 v74, 0x388b, v52
	v_mul_f16_e32 v78, 0xb94e, v23
	v_add_f16_e32 v14, v27, v59
	v_mul_f16_e32 v77, 0x3bf1, v76
	v_add_f16_e32 v16, v17, v16
	v_fmamk_f16 v17, v6, 0x3a95, v74
	v_mul_f16_e32 v79, 0xbbc4, v55
	v_fmamk_f16 v81, v3, 0xb9fd, v78
	v_mul_f16_e32 v82, 0x3bf1, v63
	v_fmamk_f16 v80, v14, 0x2fb7, v77
	v_add_f16_e32 v16, v17, v16
	v_fmamk_f16 v17, v7, 0xb3a8, v79
	v_mul_f16_e32 v83, 0x3b15, v58
	v_add_f16_e32 v81, v13, v81
	v_fmamk_f16 v84, v8, 0x2fb7, v82
	v_mul_f16_e32 v85, 0xba95, v66
	v_add_f16_e32 v16, v17, v16
	v_fmamk_f16 v17, v0, 0xb770, v83
	v_add_f16_e32 v15, v80, v15
	v_add_f16_e32 v80, v84, v81
	v_fmamk_f16 v81, v9, 0x388b, v85
	v_mul_f16_e32 v84, 0x33a8, v68
	v_add_f16_e32 v16, v17, v16
	v_mul_f16_e32 v92, 0xbb7b, v23
	v_mul_f16_e32 v96, 0x394e, v63
	v_add_f16_e32 v17, v81, v80
	v_fmamk_f16 v80, v10, 0xbbc4, v84
	v_mul_f16_e32 v81, 0x3770, v71
	v_fmamk_f16 v95, v3, 0xb5ac, v92
	v_mul_f16_e32 v86, 0xb5ac, v64
	v_mul_f16_e32 v87, 0xb5ac, v45
	v_add_f16_e32 v17, v80, v17
	v_fmamk_f16 v80, v11, 0x3b15, v81
	v_add_f16_e32 v95, v13, v95
	v_fmamk_f16 v98, v8, 0xb9fd, v96
	v_mul_f16_e32 v99, 0x3770, v66
	v_fmamk_f16 v88, v1, 0x3b7b, v86
	v_add_f16_e32 v17, v80, v17
	v_mul_f16_e32 v80, 0xbb7b, v76
	v_fmamk_f16 v89, v5, 0x3b7b, v87
	v_mul_f16_e32 v90, 0xb9fd, v47
	v_add_f16_e32 v16, v88, v16
	v_mul_f16_e32 v91, 0x3b15, v52
	v_fmamk_f16 v94, v14, 0xb5ac, v80
	v_add_f16_sdwa v88, v13, v89 dst_sel:DWORD dst_unused:UNUSED_PAD src0_sel:WORD_1 src1_sel:DWORD
	v_fmamk_f16 v89, v4, 0xb94e, v90
	v_mul_f16_e32 v101, 0x33a8, v71
	v_mul_f16_e32 v93, 0x2fb7, v55
	v_add_f16_e32 v17, v94, v17
	v_add_f16_e32 v94, v98, v95
	v_fmamk_f16 v95, v9, 0x3b15, v99
	v_mul_f16_e32 v98, 0xbbf1, v68
	v_add_f16_e32 v88, v89, v88
	v_fmamk_f16 v89, v6, 0xb770, v91
	v_mul_f16_e32 v106, 0xbbf1, v23
	;; [unrolled: 3-line block ×3, first 2 shown]
	v_add_f16_e32 v88, v89, v88
	v_fmamk_f16 v89, v7, 0x3bf1, v93
	v_fmamk_f16 v109, v3, 0x2fb7, v106
	v_add_f16_e32 v94, v95, v94
	v_fmamk_f16 v95, v11, 0xbbc4, v101
	v_mul_f16_e32 v110, 0xb3a8, v63
	v_add_f16_e32 v88, v89, v88
	v_fmamk_f16 v89, v0, 0xb3a8, v97
	v_add_f16_e32 v109, v13, v109
	v_add_f16_e32 v94, v95, v94
	v_mul_f16_e32 v95, 0x3a95, v76
	v_fmamk_f16 v112, v8, 0xbbc4, v110
	v_mul_f16_e32 v113, 0x3b7b, v66
	v_add_f16_e32 v88, v89, v88
	v_mul_f16_e32 v89, 0x388b, v64
	v_fmamk_f16 v108, v14, 0x388b, v95
	v_mul_f16_e32 v100, 0x2fb7, v45
	v_mul_f16_e32 v104, 0xbbc4, v47
	v_mul_f16_e32 v115, 0xba95, v71
	v_fmamk_f16 v102, v1, 0xba95, v89
	v_add_f16_e32 v94, v108, v94
	v_add_f16_e32 v108, v112, v109
	v_fmamk_f16 v109, v9, 0xb5ac, v113
	v_mul_f16_e32 v112, 0x3770, v68
	v_fmamk_f16 v103, v5, 0x3bf1, v100
	v_add_f16_e32 v88, v102, v88
	v_mul_f16_e32 v105, 0xb5ac, v52
	v_add_f16_e32 v108, v109, v108
	v_fmamk_f16 v109, v10, 0x3b15, v112
	v_add_f16_sdwa v102, v13, v103 dst_sel:DWORD dst_unused:UNUSED_PAD src0_sel:WORD_1 src1_sel:DWORD
	v_fmamk_f16 v103, v4, 0x33a8, v104
	v_mul_f16_e32 v107, 0x3b15, v55
	v_mul_f16_e32 v111, 0x388b, v58
	v_add_f16_e32 v108, v109, v108
	v_fmamk_f16 v109, v11, 0x388b, v115
	v_add_f16_e32 v102, v103, v102
	v_fmamk_f16 v103, v6, 0xbb7b, v105
	v_mul_f16_e32 v123, 0xbb7b, v63
	v_mul_f16_e32 v126, 0xb3a8, v66
	v_add_f16_e32 v108, v109, v108
	v_mul_f16_e32 v109, 0xba95, v23
	v_add_f16_e32 v102, v103, v102
	v_fmamk_f16 v103, v7, 0xb770, v107
	v_fmamk_f16 v125, v8, 0xb5ac, v123
	v_mul_f16_e32 v128, 0x394e, v68
	v_fmamk_f16 v122, v3, 0x388b, v109
	v_mul_f16_e32 v117, 0xb5ac, v47
	v_add_f16_e32 v102, v103, v102
	v_fmamk_f16 v103, v0, 0x3a95, v111
	v_mul_f16_e32 v121, 0xb94e, v76
	v_add_f16_e32 v122, v13, v122
	v_mul_f16_e32 v129, 0x3bf1, v71
	v_mul_f16_e32 v47, 0x388b, v47
	v_add_f16_e32 v102, v103, v102
	v_mul_f16_e32 v103, 0x388b, v45
	v_add_f16_e32 v122, v125, v122
	v_fmamk_f16 v125, v9, 0xbbc4, v126
	v_mul_f16_e32 v45, 0x3b15, v45
	v_add_f16_sdwa v41, v41, v13 dst_sel:DWORD dst_unused:UNUSED_PAD src0_sel:DWORD src1_sel:WORD_1
	v_fmamk_f16 v116, v5, 0x3a95, v103
	v_fmamk_f16 v119, v4, 0x3b7b, v117
	v_add_f16_e32 v122, v125, v122
	v_fmamk_f16 v125, v10, 0xb9fd, v128
	v_fmamk_f16 v130, v5, 0x3770, v45
	v_add_f16_sdwa v116, v13, v116 dst_sel:DWORD dst_unused:UNUSED_PAD src0_sel:WORD_1 src1_sel:DWORD
	v_mul_f16_e32 v120, 0xbbc4, v52
	v_fmamk_f16 v127, v14, 0xb9fd, v121
	v_add_f16_e32 v122, v125, v122
	v_fmamk_f16 v125, v11, 0x2fb7, v129
	v_add_f16_sdwa v130, v13, v130 dst_sel:DWORD dst_unused:UNUSED_PAD src0_sel:WORD_1 src1_sel:DWORD
	v_fmamk_f16 v132, v4, 0x3a95, v47
	v_mul_f16_e32 v52, 0x2fb7, v52
	v_add_f16_e32 v40, v13, v40
	v_add_f16_e32 v41, v43, v41
	;; [unrolled: 1-line block ×3, first 2 shown]
	v_mul_f16_e32 v119, 0xb9fd, v55
	v_add_f16_e32 v108, v127, v108
	v_add_f16_e32 v122, v125, v122
	;; [unrolled: 1-line block ×3, first 2 shown]
	v_fmamk_f16 v127, v6, 0x3bf1, v52
	v_mul_f16_e32 v55, 0xb5ac, v55
	v_add_f16_e32 v30, v30, v40
	v_add_f16_e32 v41, v48, v41
	v_mul_f16_e32 v23, 0xb770, v23
	v_add_f16_e32 v40, v127, v125
	v_fmamk_f16 v43, v7, 0x3b7b, v55
	v_add_f16_e32 v30, v50, v30
	v_add_f16_e32 v26, v26, v41
	v_mul_f16_e32 v41, 0xb9fd, v58
	v_mul_f16_e32 v48, 0xbbf1, v66
	v_add_f16_e32 v40, v43, v40
	v_fmamk_f16 v43, v3, 0x3b15, v23
	v_add_f16_e32 v29, v29, v30
	v_mul_f16_e32 v30, 0xba95, v63
	v_add_f16_e32 v26, v56, v26
	v_mul_f16_e32 v124, 0x2fb7, v58
	v_add_f16_e32 v43, v13, v43
	v_add_f16_e32 v28, v28, v29
	v_fmamk_f16 v29, v8, 0x388b, v30
	v_add_f16_e32 v26, v61, v26
	v_fmamk_f16 v56, v0, 0x394e, v41
	v_mul_f16_e32 v58, 0xbb7b, v68
	v_add_f16_e32 v28, v59, v28
	v_add_f16_e32 v29, v29, v43
	v_fmamk_f16 v43, v9, 0x2fb7, v48
	v_add_f16_e32 v26, v60, v26
	v_fmac_f16_e32 v24, 0xb3a8, v5
	v_add_f16_e32 v27, v27, v28
	v_add_f16_e32 v28, v56, v40
	;; [unrolled: 1-line block ×3, first 2 shown]
	v_fmamk_f16 v40, v10, 0xb5ac, v58
	v_mul_f16_e32 v43, 0xb94e, v71
	v_add_f16_e32 v22, v22, v26
	v_fmac_f16_e32 v73, 0xb94e, v5
	v_add_f16_sdwa v24, v13, v24 dst_sel:DWORD dst_unused:UNUSED_PAD src0_sel:WORD_1 src1_sel:DWORD
	v_add_f16_e32 v29, v40, v29
	v_fmamk_f16 v40, v11, 0xb9fd, v43
	v_add_f16_e32 v20, v20, v22
	v_mul_f16_e32 v22, 0xb3a8, v76
	v_fmac_f16_e32 v21, 0x3770, v4
	v_fmac_f16_e32 v75, 0x3bf1, v4
	v_add_f16_e32 v29, v40, v29
	v_add_f16_e32 v20, v49, v20
	v_fmamk_f16 v40, v14, 0xbbc4, v22
	v_add_f16_e32 v21, v21, v24
	v_fmac_f16_e32 v54, 0xb94e, v6
	v_fmac_f16_e32 v74, 0xba95, v6
	v_add_f16_e32 v20, v42, v20
	v_add_f16_e32 v29, v40, v29
	v_fma_f16 v40, v3, 0xbbc4, -v62
	v_add_f16_sdwa v42, v13, v73 dst_sel:DWORD dst_unused:UNUSED_PAD src0_sel:WORD_1 src1_sel:DWORD
	v_add_f16_e32 v21, v54, v21
	v_add_f16_e32 v20, v25, v20
	v_fmac_f16_e32 v19, 0x3a95, v7
	v_add_f16_e32 v25, v13, v40
	v_fma_f16 v40, v8, 0x3b15, -v65
	v_fmac_f16_e32 v79, 0x33a8, v7
	v_fmac_f16_e32 v18, 0xbb7b, v0
	v_add_f16_e32 v19, v19, v21
	v_fmac_f16_e32 v83, 0x3770, v0
	v_add_f16_e32 v24, v40, v25
	v_fma_f16 v25, v9, 0xb9fd, -v67
	v_add_f16_e32 v40, v75, v42
	v_add_f16_e32 v18, v18, v19
	v_fmac_f16_e32 v87, 0xbb7b, v5
	v_fmac_f16_e32 v90, 0x394e, v4
	v_add_f16_e32 v24, v25, v24
	v_fma_f16 v25, v10, 0x388b, -v69
	v_add_f16_e32 v40, v74, v40
	v_add_f16_sdwa v42, v13, v87 dst_sel:DWORD dst_unused:UNUSED_PAD src0_sel:WORD_1 src1_sel:DWORD
	v_fmac_f16_e32 v91, 0x3770, v6
	v_add_f16_e32 v27, v57, v27
	v_add_f16_e32 v21, v25, v24
	v_fma_f16 v24, v11, 0xb5ac, -v72
	v_add_f16_e32 v25, v79, v40
	v_fma_f16 v40, v8, 0x2fb7, -v82
	v_add_f16_e32 v42, v90, v42
	v_fmac_f16_e32 v93, 0xbbf1, v7
	v_add_f16_e32 v19, v24, v21
	v_add_f16_e32 v24, v83, v25
	v_fma_f16 v25, v3, 0xb9fd, -v78
	v_add_f16_e32 v42, v91, v42
	v_add_f16_e32 v27, v53, v27
	v_fmac_f16_e32 v97, 0x33a8, v0
	v_fma_f16 v21, v14, 0x2fb7, -v77
	v_add_f16_e32 v25, v13, v25
	v_add_f16_e32 v42, v93, v42
	;; [unrolled: 1-line block ×3, first 2 shown]
	v_fmac_f16_e32 v86, 0xbb7b, v1
	v_fmac_f16_e32 v89, 0x3a95, v1
	v_add_f16_e32 v25, v40, v25
	v_fma_f16 v40, v9, 0x388b, -v85
	v_add_f16_e32 v42, v97, v42
	v_add_f16_e32 v27, v46, v27
	;; [unrolled: 1-line block ×5, first 2 shown]
	v_fma_f16 v40, v10, 0xbbc4, -v84
	v_fma_f16 v24, v3, 0xb5ac, -v92
	v_add_f16_e32 v27, v44, v27
	v_fma_f16 v44, v8, 0xb9fd, -v96
	v_fma_f16 v46, v8, 0xbbc4, -v110
	v_add_f16_e32 v25, v40, v25
	v_fma_f16 v40, v11, 0x3b15, -v81
	v_add_f16_e32 v24, v13, v24
	v_mul_f16_e32 v114, 0xb9fd, v64
	v_mul_f16_e32 v130, 0x3770, v76
	v_fmac_f16_e32 v100, 0xbbf1, v5
	v_add_f16_e32 v25, v40, v25
	v_fma_f16 v40, v14, 0xb5ac, -v80
	v_add_f16_e32 v24, v44, v24
	v_fma_f16 v44, v9, 0x3b15, -v99
	v_fmamk_f16 v118, v1, 0x394e, v114
	v_fmamk_f16 v50, v14, 0x3b15, v130
	v_add_f16_e32 v25, v40, v25
	v_add_f16_e32 v40, v89, v42
	v_fma_f16 v42, v3, 0x2fb7, -v106
	v_add_f16_e32 v24, v44, v24
	v_fma_f16 v44, v10, 0x2fb7, -v98
	v_add_f16_e32 v102, v118, v102
	v_fmamk_f16 v118, v6, 0x33a8, v120
	v_add_f16_e32 v42, v13, v42
	v_fmac_f16_e32 v103, 0xba95, v5
	v_add_f16_e32 v24, v44, v24
	v_fma_f16 v44, v11, 0xbbc4, -v101
	v_fma_f16 v51, v3, 0x388b, -v109
	v_add_f16_e32 v42, v46, v42
	v_fma_f16 v46, v9, 0xb5ac, -v113
	v_fmac_f16_e32 v45, 0xb770, v5
	v_add_f16_e32 v24, v44, v24
	v_fma_f16 v44, v14, 0x388b, -v95
	v_fma_f16 v3, v3, 0x3b15, -v23
	v_add_f16_e32 v42, v46, v42
	v_fma_f16 v46, v10, 0x3b15, -v112
	v_add_f16_e32 v116, v118, v116
	v_fmamk_f16 v118, v7, 0xb94e, v119
	v_add_f16_e32 v24, v44, v24
	v_add_f16_sdwa v44, v13, v100 dst_sel:DWORD dst_unused:UNUSED_PAD src0_sel:WORD_1 src1_sel:DWORD
	v_add_f16_e32 v42, v46, v42
	v_fma_f16 v46, v11, 0x388b, -v115
	v_fmac_f16_e32 v104, 0xb3a8, v4
	v_add_f16_e32 v49, v50, v122
	v_add_f16_sdwa v50, v13, v103 dst_sel:DWORD dst_unused:UNUSED_PAD src0_sel:WORD_1 src1_sel:DWORD
	v_fmac_f16_e32 v117, 0xbb7b, v4
	v_add_f16_e32 v42, v46, v42
	v_fma_f16 v46, v14, 0xb9fd, -v121
	v_add_f16_e32 v23, v13, v51
	v_add_f16_sdwa v45, v13, v45 dst_sel:DWORD dst_unused:UNUSED_PAD src0_sel:WORD_1 src1_sel:DWORD
	v_fmac_f16_e32 v47, 0xba95, v4
	v_add_f16_e32 v3, v13, v3
	v_add_f16_e32 v42, v46, v42
	v_fma_f16 v46, v8, 0xb5ac, -v123
	v_fma_f16 v4, v8, 0x388b, -v30
	v_add_f16_e32 v116, v118, v116
	v_fmamk_f16 v118, v0, 0xbbf1, v124
	v_add_f16_e32 v44, v104, v44
	v_fmac_f16_e32 v105, 0x3b7b, v6
	v_add_f16_e32 v50, v117, v50
	v_fmac_f16_e32 v120, 0xb3a8, v6
	v_add_f16_e32 v8, v46, v23
	v_fma_f16 v13, v9, 0xbbc4, -v126
	v_add_f16_e32 v23, v47, v45
	v_fmac_f16_e32 v52, 0xbbf1, v6
	v_add_f16_e32 v3, v4, v3
	v_fma_f16 v4, v9, 0x2fb7, -v48
	v_add_f16_e32 v116, v118, v116
	v_mul_f16_e32 v118, 0x3b15, v64
	v_mul_f16_e32 v26, 0xbbc4, v64
	v_add_f16_e32 v44, v105, v44
	v_fmac_f16_e32 v107, 0x3770, v7
	v_add_f16_e32 v50, v120, v50
	v_fmac_f16_e32 v119, 0x394e, v7
	v_add_f16_e32 v6, v13, v8
	v_fma_f16 v8, v10, 0xb9fd, -v128
	v_add_f16_e32 v9, v52, v23
	v_fmac_f16_e32 v55, 0xbb7b, v7
	v_add_f16_e32 v3, v4, v3
	v_fma_f16 v4, v10, 0xb5ac, -v58
	v_fmamk_f16 v131, v1, 0xb770, v118
	v_fmamk_f16 v53, v1, 0x33a8, v26
	v_add_f16_e32 v44, v107, v44
	v_fmac_f16_e32 v111, 0xba95, v0
	v_add_f16_e32 v50, v119, v50
	v_fmac_f16_e32 v124, 0x3bf1, v0
	v_add_f16_e32 v6, v8, v6
	v_fma_f16 v7, v11, 0x2fb7, -v129
	v_add_f16_e32 v8, v55, v9
	v_fmac_f16_e32 v41, 0xb94e, v0
	v_add_f16_e32 v0, v4, v3
	v_fma_f16 v3, v11, 0xb9fd, -v43
	v_add_f16_e32 v116, v131, v116
	v_add_f16_e32 v28, v53, v28
	v_fmac_f16_e32 v70, 0x3bf1, v1
	v_add_f16_e32 v44, v111, v44
	v_fmac_f16_e32 v114, 0xb94e, v1
	;; [unrolled: 2-line block ×3, first 2 shown]
	v_add_f16_e32 v4, v7, v6
	v_fma_f16 v6, v14, 0x3b15, -v130
	v_add_f16_e32 v7, v41, v8
	v_fmac_f16_e32 v26, 0xb3a8, v1
	v_add_f16_e32 v0, v3, v0
	v_fma_f16 v1, v14, 0xbbc4, -v22
	v_pack_b32_f16 v3, v27, v20
	v_lshl_add_u32 v8, v36, 2, v39
	v_pack_b32_f16 v9, v29, v28
	v_pack_b32_f16 v10, v49, v116
	v_add_f16_e32 v18, v70, v18
	v_add_f16_e32 v44, v114, v44
	;; [unrolled: 1-line block ×6, first 2 shown]
	ds_write_b32 v33, v3
	ds_write2_b32 v8, v9, v10 offset0:6 offset1:12
	v_pack_b32_f16 v1, v108, v102
	v_pack_b32_f16 v3, v94, v88
	;; [unrolled: 1-line block ×10, first 2 shown]
	ds_write2_b32 v8, v1, v3 offset0:18 offset1:24
	ds_write2_b32 v8, v7, v2 offset0:30 offset1:36
	;; [unrolled: 1-line block ×5, first 2 shown]
.LBB0_9:
	s_or_b32 exec_lo, exec_lo, s0
	s_waitcnt lgkmcnt(0)
	s_barrier
	buffer_gl0_inv
	ds_read2_b32 v[0:1], v33 offset1:13
	ds_read2_b32 v[2:3], v33 offset0:26 offset1:39
	s_mov_b32 s6, 0x1a41a41a
	s_mov_b32 s7, 0x3f8a41a4
	s_waitcnt lgkmcnt(1)
	v_lshrrev_b32_e32 v4, 16, v0
	v_mul_f16_sdwa v5, v38, v0 dst_sel:DWORD dst_unused:UNUSED_PAD src0_sel:WORD_1 src1_sel:DWORD
	v_lshrrev_b32_e32 v6, 16, v1
	v_mul_f16_sdwa v7, v37, v1 dst_sel:DWORD dst_unused:UNUSED_PAD src0_sel:WORD_1 src1_sel:DWORD
	s_waitcnt lgkmcnt(0)
	v_lshrrev_b32_e32 v18, 16, v2
	v_mul_f16_sdwa v8, v38, v4 dst_sel:DWORD dst_unused:UNUSED_PAD src0_sel:WORD_1 src1_sel:DWORD
	v_fma_f16 v4, v38, v4, -v5
	v_mul_f16_sdwa v13, v37, v6 dst_sel:DWORD dst_unused:UNUSED_PAD src0_sel:WORD_1 src1_sel:DWORD
	v_fma_f16 v5, v37, v6, -v7
	v_mul_f16_sdwa v14, v35, v18 dst_sel:DWORD dst_unused:UNUSED_PAD src0_sel:WORD_1 src1_sel:DWORD
	v_fmac_f16_e32 v8, v38, v0
	v_cvt_f32_f16_e32 v0, v4
	v_fmac_f16_e32 v13, v37, v1
	v_cvt_f32_f16_e32 v9, v5
	;; [unrolled: 2-line block ×3, first 2 shown]
	v_cvt_f64_f32_e32 v[4:5], v0
	v_cvt_f32_f16_e32 v13, v13
	v_cvt_f64_f32_e32 v[8:9], v9
	v_mad_u64_u32 v[6:7], null, s10, v12, 0
	v_cvt_f64_f32_e32 v[0:1], v10
	v_cvt_f32_f16_e32 v17, v14
	v_cvt_f64_f32_e32 v[13:14], v13
	v_mad_u64_u32 v[10:11], null, s8, v36, 0
	v_mul_f16_sdwa v2, v35, v2 dst_sel:DWORD dst_unused:UNUSED_PAD src0_sel:WORD_1 src1_sel:DWORD
	v_mul_f64 v[4:5], v[4:5], s[6:7]
	v_mad_u64_u32 v[15:16], null, s11, v12, v[7:8]
	v_mul_f64 v[8:9], v[8:9], s[6:7]
	v_mul_f64 v[0:1], v[0:1], s[6:7]
	v_mad_u64_u32 v[11:12], null, s9, v36, v[11:12]
	v_mul_f64 v[12:13], v[13:14], s[6:7]
	v_cvt_f64_f32_e32 v[16:17], v17
	v_mov_b32_e32 v7, v15
	v_lshlrev_b64 v[10:11], 2, v[10:11]
	v_lshlrev_b64 v[6:7], 2, v[6:7]
	v_add_co_u32 v14, vcc_lo, s4, v6
	v_and_or_b32 v4, 0x1ff, v5, v4
	v_add_co_ci_u32_e32 v15, vcc_lo, s5, v7, vcc_lo
	v_and_or_b32 v8, 0x1ff, v9, v8
	v_and_or_b32 v0, 0x1ff, v1, v0
	v_cmp_ne_u32_e32 vcc_lo, 0, v4
	v_lshrrev_b32_e32 v21, 8, v1
	v_bfe_u32 v22, v1, 20, 11
	v_and_or_b32 v12, 0x1ff, v13, v12
	v_mul_f64 v[6:7], v[16:17], s[6:7]
	v_cndmask_b32_e64 v4, 0, 1, vcc_lo
	v_cmp_ne_u32_e32 vcc_lo, 0, v8
	v_lshrrev_b32_e32 v16, 8, v5
	v_bfe_u32 v17, v5, 20, 11
	v_bfe_u32 v20, v9, 20, 11
	v_sub_nc_u32_e32 v27, 0x3f1, v22
	v_cndmask_b32_e64 v8, 0, 1, vcc_lo
	v_cmp_ne_u32_e32 vcc_lo, 0, v0
	v_lshrrev_b32_e32 v19, 8, v9
	v_sub_nc_u32_e32 v23, 0x3f1, v17
	v_lshrrev_b32_e32 v24, 8, v13
	v_bfe_u32 v25, v13, 20, 11
	v_cndmask_b32_e64 v0, 0, 1, vcc_lo
	v_cmp_ne_u32_e32 vcc_lo, 0, v12
	v_sub_nc_u32_e32 v26, 0x3f1, v20
	v_and_or_b32 v4, 0xffe, v16, v4
	v_add_nc_u32_e32 v17, 0xfffffc10, v17
	v_and_or_b32 v0, 0xffe, v21, v0
	v_cndmask_b32_e64 v12, 0, 1, vcc_lo
	v_med3_i32 v21, v27, 0, 13
	v_med3_i32 v16, v23, 0, 13
	v_sub_nc_u32_e32 v23, 0x3f1, v25
	v_or_b32_e32 v28, 0x1000, v0
	v_and_or_b32 v8, 0xffe, v19, v8
	v_med3_i32 v19, v26, 0, 13
	v_or_b32_e32 v26, 0x1000, v4
	v_cmp_ne_u32_e32 vcc_lo, 0, v4
	v_and_or_b32 v12, 0xffe, v24, v12
	v_lshrrev_b32_e32 v29, v21, v28
	v_add_nc_u32_e32 v22, 0xfffffc10, v22
	v_lshl_or_b32 v27, v17, 12, v4
	v_cndmask_b32_e64 v4, 0, 1, vcc_lo
	v_med3_i32 v23, v23, 0, 13
	v_lshrrev_b32_e32 v37, v16, v26
	v_or_b32_e32 v38, 0x1000, v12
	v_lshlrev_b32_e32 v21, v21, v29
	v_cmp_ne_u32_e32 vcc_lo, 0, v0
	v_lshl_or_b32 v36, v22, 12, v0
	v_lshlrev_b32_e32 v16, v16, v37
	v_lshrrev_b32_e32 v39, v23, v38
	v_or_b32_e32 v24, 0x1000, v8
	v_cndmask_b32_e64 v0, 0, 1, vcc_lo
	v_cmp_ne_u32_e32 vcc_lo, v21, v28
	v_add_nc_u32_e32 v25, 0xfffffc10, v25
	v_lshlrev_b32_e32 v23, v23, v39
	v_lshrrev_b32_e32 v28, v19, v24
	v_lshl_or_b32 v0, v0, 9, 0x7c00
	v_cndmask_b32_e64 v21, 0, 1, vcc_lo
	v_cmp_ne_u32_e32 vcc_lo, v16, v26
	v_lshl_or_b32 v26, v25, 12, v12
	v_lshlrev_b32_e32 v19, v19, v28
	v_cmp_gt_i32_e64 s3, 1, v25
	v_or_b32_e32 v21, v29, v21
	v_cndmask_b32_e64 v16, 0, 1, vcc_lo
	v_cmp_ne_u32_e32 vcc_lo, v23, v38
	v_lshl_or_b32 v4, v4, 9, 0x7c00
	v_lshrrev_b32_e32 v1, 16, v1
	v_lshrrev_b32_e32 v5, 16, v5
	v_or_b32_e32 v16, v37, v16
	v_cndmask_b32_e64 v23, 0, 1, vcc_lo
	v_cmp_gt_i32_e32 vcc_lo, 1, v22
	v_add_nc_u32_e32 v20, 0xfffffc10, v20
	v_and_or_b32 v6, 0x1ff, v7, v6
	v_lshrrev_b32_e32 v13, 16, v13
	v_or_b32_e32 v23, v39, v23
	v_cndmask_b32_e32 v21, v36, v21, vcc_lo
	v_cmp_gt_i32_e32 vcc_lo, 1, v17
	v_lshl_or_b32 v30, v20, 12, v8
	v_lshrrev_b32_e32 v9, 16, v9
	v_cndmask_b32_e64 v23, v26, v23, s3
	s_mul_i32 s3, s8, 52
	v_cndmask_b32_e32 v16, v27, v16, vcc_lo
	v_and_b32_e32 v27, 7, v21
	v_lshrrev_b32_e32 v21, 2, v21
	v_and_b32_e32 v26, 7, v23
	v_and_b32_e32 v29, 7, v16
	v_cmp_lt_i32_e32 vcc_lo, 5, v27
	v_cmp_eq_u32_e64 s0, 3, v27
	v_lshrrev_b32_e32 v16, 2, v16
	v_cmp_lt_i32_e64 s1, 5, v29
	v_cmp_eq_u32_e64 s2, 3, v29
	s_or_b32 vcc_lo, s0, vcc_lo
	v_cmp_eq_u32_e64 s0, 3, v26
	v_add_co_ci_u32_e32 v21, vcc_lo, 0, v21, vcc_lo
	s_or_b32 vcc_lo, s2, s1
	v_cmp_ne_u32_e64 s1, 0, v6
	v_add_co_ci_u32_e32 v16, vcc_lo, 0, v16, vcc_lo
	v_cmp_gt_i32_e32 vcc_lo, 31, v22
	s_mul_hi_u32 s2, s8, 52
	v_cndmask_b32_e64 v6, 0, 1, s1
	v_cndmask_b32_e32 v21, 0x7c00, v21, vcc_lo
	v_cmp_gt_i32_e32 vcc_lo, 31, v17
	v_cndmask_b32_e32 v16, 0x7c00, v16, vcc_lo
	v_cmp_eq_u32_e32 vcc_lo, 0x40f, v22
	v_cndmask_b32_e32 v0, v21, v0, vcc_lo
	v_cmp_ne_u32_e32 vcc_lo, v19, v24
	v_and_or_b32 v0, 0x8000, v1, v0
	v_cndmask_b32_e64 v19, 0, 1, vcc_lo
	v_cmp_eq_u32_e32 vcc_lo, 0x40f, v17
	v_lshrrev_b32_e32 v1, 2, v23
	v_and_b32_e32 v0, 0xffff, v0
	v_cndmask_b32_e32 v4, v16, v4, vcc_lo
	v_cmp_lt_i32_e32 vcc_lo, 5, v26
	v_and_or_b32 v4, 0x8000, v5, v4
	s_or_b32 vcc_lo, s0, vcc_lo
	v_or_b32_e32 v5, v28, v19
	v_add_co_ci_u32_e32 v1, vcc_lo, 0, v1, vcc_lo
	v_cmp_ne_u32_e32 vcc_lo, 0, v12
	v_lshl_or_b32 v16, v4, 16, v0
	v_fma_f16 v0, v35, v18, -v2
	v_cndmask_b32_e64 v2, 0, 1, vcc_lo
	v_cmp_gt_i32_e32 vcc_lo, 1, v20
	v_cvt_f32_f16_e32 v0, v0
	v_lshl_or_b32 v2, v2, 9, 0x7c00
	v_cndmask_b32_e32 v12, v30, v5, vcc_lo
	v_cmp_gt_i32_e32 vcc_lo, 31, v25
	v_and_b32_e32 v18, 7, v12
	v_cndmask_b32_e32 v17, 0x7c00, v1, vcc_lo
	v_cvt_f64_f32_e32 v[0:1], v0
	v_add_co_u32 v4, vcc_lo, v14, v10
	v_add_co_ci_u32_e32 v5, vcc_lo, v15, v11, vcc_lo
	v_cmp_eq_u32_e32 vcc_lo, 0x40f, v25
	v_cmp_eq_u32_e64 s0, 3, v18
	v_lshrrev_b32_e32 v10, 2, v12
	v_lshrrev_b32_e32 v11, 8, v7
	v_bfe_u32 v12, v7, 20, 11
	v_cndmask_b32_e32 v2, v17, v2, vcc_lo
	v_cmp_lt_i32_e32 vcc_lo, 5, v18
	v_lshrrev_b32_e32 v14, 16, v3
	v_and_or_b32 v6, 0xffe, v11, v6
	v_sub_nc_u32_e32 v11, 0x3f1, v12
	v_and_or_b32 v2, 0x8000, v13, v2
	s_or_b32 vcc_lo, s0, vcc_lo
	v_mul_f16_sdwa v17, v34, v14 dst_sel:DWORD dst_unused:UNUSED_PAD src0_sel:WORD_1 src1_sel:DWORD
	v_add_co_ci_u32_e32 v10, vcc_lo, 0, v10, vcc_lo
	v_cmp_ne_u32_e32 vcc_lo, 0, v8
	v_or_b32_e32 v15, 0x1000, v6
	v_mul_f64 v[0:1], v[0:1], s[6:7]
	v_med3_i32 v11, v11, 0, 13
	v_fmac_f16_e32 v17, v34, v3
	v_cndmask_b32_e64 v8, 0, 1, vcc_lo
	v_cmp_gt_i32_e32 vcc_lo, 31, v20
	v_add_nc_u32_e32 v12, 0xfffffc10, v12
	v_lshrrev_b32_e32 v18, v11, v15
	global_store_dword v[4:5], v16, off
	v_lshl_or_b32 v8, v8, 9, 0x7c00
	v_cndmask_b32_e32 v10, 0x7c00, v10, vcc_lo
	v_cmp_eq_u32_e32 vcc_lo, 0x40f, v20
	v_lshlrev_b32_e32 v11, v11, v18
	v_and_b32_e32 v2, 0xffff, v2
	v_mul_f16_sdwa v3, v34, v3 dst_sel:DWORD dst_unused:UNUSED_PAD src0_sel:WORD_1 src1_sel:DWORD
	s_mul_i32 s0, s9, 52
	v_cndmask_b32_e32 v8, v10, v8, vcc_lo
	v_cvt_f32_f16_e32 v10, v17
	v_cmp_ne_u32_e32 vcc_lo, v11, v15
	v_lshl_or_b32 v11, v12, 12, v6
	s_add_i32 s2, s2, s0
	v_and_or_b32 v13, 0x8000, v9, v8
	v_cvt_f64_f32_e32 v[8:9], v10
	v_and_or_b32 v0, 0x1ff, v1, v0
	v_cndmask_b32_e64 v10, 0, 1, vcc_lo
	v_lshrrev_b32_e32 v15, 8, v1
	v_bfe_u32 v16, v1, 20, 11
	v_fma_f16 v14, v34, v14, -v3
	v_cmp_ne_u32_e32 vcc_lo, 0, v0
	v_or_b32_e32 v10, v18, v10
	v_lshrrev_b32_e32 v7, 16, v7
	v_cndmask_b32_e64 v0, 0, 1, vcc_lo
	v_cmp_gt_i32_e32 vcc_lo, 1, v12
	v_and_or_b32 v0, 0xffe, v15, v0
	v_cndmask_b32_e32 v10, v11, v10, vcc_lo
	v_sub_nc_u32_e32 v11, 0x3f1, v16
	v_lshl_or_b32 v15, v13, 16, v2
	v_add_nc_u32_e32 v16, 0xfffffc10, v16
	v_or_b32_e32 v13, 0x1000, v0
	v_mul_f64 v[8:9], v[8:9], s[6:7]
	v_med3_i32 v11, v11, 0, 13
	v_and_b32_e32 v2, 7, v10
	v_lshrrev_b32_e32 v17, v11, v13
	v_cmp_lt_i32_e32 vcc_lo, 5, v2
	v_cmp_eq_u32_e64 s0, 3, v2
	v_add_co_u32 v2, s1, v4, s3
	v_lshrrev_b32_e32 v4, 2, v10
	v_lshlrev_b32_e32 v10, v11, v17
	s_or_b32 vcc_lo, s0, vcc_lo
	v_cvt_f32_f16_e32 v11, v14
	v_add_co_ci_u32_e64 v3, s1, s2, v5, s1
	v_add_co_ci_u32_e32 v14, vcc_lo, 0, v4, vcc_lo
	v_cmp_ne_u32_e32 vcc_lo, v10, v13
	ds_read2_b32 v[4:5], v33 offset0:52 offset1:65
	v_cvt_f64_f32_e32 v[10:11], v11
	v_and_or_b32 v8, 0x1ff, v9, v8
	v_lshrrev_b32_e32 v18, 8, v9
	v_cndmask_b32_e64 v13, 0, 1, vcc_lo
	v_cmp_gt_i32_e32 vcc_lo, 31, v12
	v_bfe_u32 v19, v9, 20, 11
	v_or_b32_e32 v13, v17, v13
	v_cndmask_b32_e32 v14, 0x7c00, v14, vcc_lo
	v_cmp_ne_u32_e32 vcc_lo, 0, v8
	v_lshl_or_b32 v17, v16, 12, v0
	v_cndmask_b32_e64 v8, 0, 1, vcc_lo
	v_cmp_ne_u32_e32 vcc_lo, 0, v6
	v_and_or_b32 v8, 0xffe, v18, v8
	v_cndmask_b32_e64 v6, 0, 1, vcc_lo
	v_cmp_gt_i32_e32 vcc_lo, 1, v16
	s_waitcnt lgkmcnt(0)
	v_lshrrev_b32_e32 v18, 16, v4
	v_mul_f64 v[10:11], v[10:11], s[6:7]
	v_or_b32_e32 v21, 0x1000, v8
	v_lshl_or_b32 v6, v6, 9, 0x7c00
	v_cndmask_b32_e32 v13, v17, v13, vcc_lo
	v_sub_nc_u32_e32 v17, 0x3f1, v19
	v_cmp_eq_u32_e32 vcc_lo, 0x40f, v12
	v_mul_f16_sdwa v22, v32, v18 dst_sel:DWORD dst_unused:UNUSED_PAD src0_sel:WORD_1 src1_sel:DWORD
	v_add_nc_u32_e32 v19, 0xfffffc10, v19
	v_and_b32_e32 v20, 7, v13
	v_med3_i32 v17, v17, 0, 13
	v_cndmask_b32_e32 v6, v14, v6, vcc_lo
	v_fmac_f16_e32 v22, v32, v4
	v_mul_f16_sdwa v4, v32, v4 dst_sel:DWORD dst_unused:UNUSED_PAD src0_sel:WORD_1 src1_sel:DWORD
	v_cmp_lt_i32_e32 vcc_lo, 5, v20
	v_lshrrev_b32_e32 v12, v17, v21
	v_cmp_eq_u32_e64 s0, 3, v20
	v_and_or_b32 v14, 0x8000, v7, v6
	v_lshrrev_b32_e32 v6, 2, v13
	v_cvt_f32_f16_e32 v13, v22
	v_lshlrev_b32_e32 v7, v17, v12
	s_or_b32 vcc_lo, s0, vcc_lo
	v_fma_f16 v4, v32, v18, -v4
	v_add_co_ci_u32_e32 v17, vcc_lo, 0, v6, vcc_lo
	v_cmp_ne_u32_e32 vcc_lo, v7, v21
	v_cvt_f64_f32_e32 v[6:7], v13
	v_lshl_or_b32 v13, v19, 12, v8
	v_and_or_b32 v10, 0x1ff, v11, v10
	v_and_b32_e32 v14, 0xffff, v14
	v_cndmask_b32_e64 v20, 0, 1, vcc_lo
	v_cmp_ne_u32_e32 vcc_lo, 0, v0
	v_cvt_f32_f16_e32 v4, v4
	v_or_b32_e32 v12, v12, v20
	v_cndmask_b32_e64 v0, 0, 1, vcc_lo
	v_cmp_gt_i32_e32 vcc_lo, 31, v16
	v_bfe_u32 v20, v11, 20, 11
	v_lshl_or_b32 v0, v0, 9, 0x7c00
	v_cndmask_b32_e32 v17, 0x7c00, v17, vcc_lo
	v_cmp_gt_i32_e32 vcc_lo, 1, v19
	v_cndmask_b32_e32 v12, v13, v12, vcc_lo
	v_cmp_ne_u32_e32 vcc_lo, 0, v10
	v_lshrrev_b32_e32 v13, 8, v11
	v_and_b32_e32 v21, 7, v12
	v_cndmask_b32_e64 v10, 0, 1, vcc_lo
	v_cmp_eq_u32_e32 vcc_lo, 0x40f, v16
	v_lshrrev_b32_e32 v12, 2, v12
	v_cmp_eq_u32_e64 s0, 3, v21
	v_and_or_b32 v10, 0xffe, v13, v10
	v_sub_nc_u32_e32 v13, 0x3f1, v20
	v_cndmask_b32_e32 v16, v17, v0, vcc_lo
	v_cmp_lt_i32_e32 vcc_lo, 5, v21
	v_lshrrev_b32_e32 v17, 16, v1
	v_mul_f64 v[0:1], v[6:7], s[6:7]
	v_or_b32_e32 v6, 0x1000, v10
	v_med3_i32 v7, v13, 0, 13
	s_or_b32 vcc_lo, s0, vcc_lo
	v_and_or_b32 v13, 0x8000, v17, v16
	v_add_co_ci_u32_e32 v12, vcc_lo, 0, v12, vcc_lo
	v_lshrrev_b32_e32 v16, v7, v6
	v_cmp_ne_u32_e32 vcc_lo, 0, v8
	v_add_nc_u32_e32 v17, 0xfffffc10, v20
	v_lshl_or_b32 v14, v13, 16, v14
	v_lshlrev_b32_e32 v7, v7, v16
	v_cndmask_b32_e64 v8, 0, 1, vcc_lo
	v_cmp_gt_i32_e32 vcc_lo, 31, v19
	v_lshl_or_b32 v13, v17, 12, v10
	v_lshl_or_b32 v8, v8, 9, 0x7c00
	v_cndmask_b32_e32 v12, 0x7c00, v12, vcc_lo
	v_cmp_ne_u32_e32 vcc_lo, v7, v6
	v_and_or_b32 v0, 0x1ff, v1, v0
	v_bfe_u32 v18, v1, 20, 11
	v_cndmask_b32_e64 v6, 0, 1, vcc_lo
	v_cmp_eq_u32_e32 vcc_lo, 0x40f, v19
	v_cndmask_b32_e32 v12, v12, v8, vcc_lo
	v_cmp_ne_u32_e32 vcc_lo, 0, v0
	v_or_b32_e32 v8, v16, v6
	v_lshrrev_b32_e32 v16, 8, v1
	v_cvt_f64_f32_e32 v[6:7], v4
	v_lshrrev_b32_e32 v1, 16, v1
	v_cndmask_b32_e64 v0, 0, 1, vcc_lo
	v_cmp_gt_i32_e32 vcc_lo, 1, v17
	v_and_or_b32 v0, 0xffe, v16, v0
	v_cndmask_b32_e32 v4, v13, v8, vcc_lo
	v_sub_nc_u32_e32 v8, 0x3f1, v18
	v_lshrrev_b32_e32 v16, 16, v5
	v_lshrrev_b32_e32 v13, 16, v9
	v_or_b32_e32 v20, 0x1000, v0
	v_and_b32_e32 v19, 7, v4
	v_med3_i32 v21, v8, 0, 13
	v_mul_f16_sdwa v22, v31, v16 dst_sel:DWORD dst_unused:UNUSED_PAD src0_sel:WORD_1 src1_sel:DWORD
	v_add_co_u32 v8, vcc_lo, v2, s3
	v_add_co_ci_u32_e32 v9, vcc_lo, s2, v3, vcc_lo
	v_lshrrev_b32_e32 v24, v21, v20
	v_cmp_lt_i32_e32 vcc_lo, 5, v19
	v_cmp_eq_u32_e64 s0, 3, v19
	v_fmac_f16_e32 v22, v31, v5
	v_lshrrev_b32_e32 v4, 2, v4
	v_lshlrev_b32_e32 v19, v21, v24
	v_and_or_b32 v23, 0x8000, v13, v12
	s_or_b32 vcc_lo, s0, vcc_lo
	v_cvt_f32_f16_e32 v12, v22
	v_add_co_ci_u32_e32 v4, vcc_lo, 0, v4, vcc_lo
	v_mul_f64 v[6:7], v[6:7], s[6:7]
	v_cmp_ne_u32_e32 vcc_lo, v19, v20
	v_cvt_f64_f32_e32 v[12:13], v12
	v_add_nc_u32_e32 v18, 0xfffffc10, v18
	v_mul_f16_sdwa v5, v31, v5 dst_sel:DWORD dst_unused:UNUSED_PAD src0_sel:WORD_1 src1_sel:DWORD
	v_cndmask_b32_e64 v19, 0, 1, vcc_lo
	v_cmp_ne_u32_e32 vcc_lo, 0, v10
	v_lshl_or_b32 v20, v18, 12, v0
	v_fma_f16 v5, v31, v16, -v5
	v_or_b32_e32 v19, v24, v19
	v_cndmask_b32_e64 v10, 0, 1, vcc_lo
	v_cmp_gt_i32_e32 vcc_lo, 31, v17
	v_cvt_f32_f16_e32 v5, v5
	v_lshl_or_b32 v10, v10, 9, 0x7c00
	v_cndmask_b32_e32 v4, 0x7c00, v4, vcc_lo
	v_cmp_gt_i32_e32 vcc_lo, 1, v18
	v_and_or_b32 v6, 0x1ff, v7, v6
	v_cndmask_b32_e32 v16, v20, v19, vcc_lo
	v_cmp_eq_u32_e32 vcc_lo, 0x40f, v17
	v_lshrrev_b32_e32 v19, 16, v11
	v_and_b32_e32 v20, 7, v16
	v_cndmask_b32_e32 v17, v4, v10, vcc_lo
	v_mul_f64 v[10:11], v[12:13], s[6:7]
	v_cvt_f64_f32_e32 v[4:5], v5
	v_cmp_ne_u32_e32 vcc_lo, 0, v6
	v_lshrrev_b32_e32 v12, 8, v7
	v_bfe_u32 v13, v7, 20, 11
	v_cmp_eq_u32_e64 s0, 3, v20
	v_lshrrev_b32_e32 v16, 2, v16
	v_cndmask_b32_e64 v6, 0, 1, vcc_lo
	v_cmp_lt_i32_e32 vcc_lo, 5, v20
	v_and_or_b32 v17, 0x8000, v19, v17
	v_and_b32_e32 v19, 0xffff, v23
	v_lshrrev_b32_e32 v7, 16, v7
	v_and_or_b32 v6, 0xffe, v12, v6
	v_sub_nc_u32_e32 v12, 0x3f1, v13
	s_or_b32 vcc_lo, s0, vcc_lo
	v_lshl_or_b32 v17, v17, 16, v19
	v_add_co_ci_u32_e32 v16, vcc_lo, 0, v16, vcc_lo
	v_or_b32_e32 v19, 0x1000, v6
	v_med3_i32 v12, v12, 0, 13
	v_cmp_ne_u32_e32 vcc_lo, 0, v0
	v_add_nc_u32_e32 v13, 0xfffffc10, v13
	v_and_or_b32 v10, 0x1ff, v11, v10
	v_mul_f64 v[4:5], v[4:5], s[6:7]
	v_lshrrev_b32_e32 v20, v12, v19
	v_cndmask_b32_e64 v0, 0, 1, vcc_lo
	v_cmp_gt_i32_e32 vcc_lo, 31, v18
	v_lshrrev_b32_e32 v21, 8, v11
	v_bfe_u32 v22, v11, 20, 11
	v_lshlrev_b32_e32 v12, v12, v20
	v_lshl_or_b32 v0, v0, 9, 0x7c00
	v_cndmask_b32_e32 v16, 0x7c00, v16, vcc_lo
	v_cmp_ne_u32_e32 vcc_lo, 0, v10
	v_lshrrev_b32_e32 v11, 16, v11
	v_cndmask_b32_e64 v10, 0, 1, vcc_lo
	v_cmp_ne_u32_e32 vcc_lo, v12, v19
	v_sub_nc_u32_e32 v19, 0x3f1, v22
	v_and_or_b32 v10, 0xffe, v21, v10
	v_cndmask_b32_e64 v12, 0, 1, vcc_lo
	v_cmp_eq_u32_e32 vcc_lo, 0x40f, v18
	v_med3_i32 v19, v19, 0, 13
	v_and_or_b32 v4, 0x1ff, v5, v4
	v_or_b32_e32 v18, 0x1000, v10
	v_or_b32_e32 v12, v20, v12
	v_cndmask_b32_e32 v0, v16, v0, vcc_lo
	v_lshl_or_b32 v16, v13, 12, v6
	v_cmp_gt_i32_e32 vcc_lo, 1, v13
	v_lshrrev_b32_e32 v20, 8, v5
	v_bfe_u32 v21, v5, 20, 11
	v_and_or_b32 v0, 0x8000, v1, v0
	v_lshrrev_b32_e32 v5, 16, v5
	v_cndmask_b32_e32 v12, v16, v12, vcc_lo
	v_lshrrev_b32_e32 v16, v19, v18
	v_cmp_ne_u32_e32 vcc_lo, 0, v4
	v_and_b32_e32 v23, 7, v12
	v_lshlrev_b32_e32 v19, v19, v16
	v_cndmask_b32_e64 v4, 0, 1, vcc_lo
	v_lshrrev_b32_e32 v12, 2, v12
	v_cmp_lt_i32_e32 vcc_lo, 5, v23
	v_cmp_ne_u32_e64 s0, v19, v18
	v_and_or_b32 v1, 0xffe, v20, v4
	v_sub_nc_u32_e32 v4, 0x3f1, v21
	v_add_nc_u32_e32 v20, 0xfffffc10, v22
	v_cndmask_b32_e64 v18, 0, 1, s0
	v_cmp_eq_u32_e64 s0, 3, v23
	v_or_b32_e32 v19, 0x1000, v1
	v_med3_i32 v4, v4, 0, 13
	v_lshl_or_b32 v22, v20, 12, v10
	v_or_b32_e32 v16, v16, v18
	s_or_b32 vcc_lo, s0, vcc_lo
	v_add_co_ci_u32_e32 v12, vcc_lo, 0, v12, vcc_lo
	v_lshrrev_b32_e32 v18, v4, v19
	v_cmp_gt_i32_e32 vcc_lo, 1, v20
	v_lshlrev_b32_e32 v4, v4, v18
	v_cndmask_b32_e32 v16, v22, v16, vcc_lo
	v_cmp_ne_u32_e32 vcc_lo, 0, v6
	v_cndmask_b32_e64 v6, 0, 1, vcc_lo
	v_cmp_ne_u32_e32 vcc_lo, v4, v19
	v_add_nc_u32_e32 v19, 0xfffffc10, v21
	v_and_b32_e32 v21, 7, v16
	v_lshl_or_b32 v6, v6, 9, 0x7c00
	v_cndmask_b32_e64 v4, 0, 1, vcc_lo
	v_cmp_gt_i32_e32 vcc_lo, 31, v13
	v_cmp_gt_i32_e64 s1, 1, v19
	v_cmp_eq_u32_e64 s0, 3, v21
	v_or_b32_e32 v4, v18, v4
	v_lshl_or_b32 v18, v19, 12, v1
	v_cndmask_b32_e32 v12, 0x7c00, v12, vcc_lo
	v_cmp_lt_i32_e32 vcc_lo, 5, v21
	v_cndmask_b32_e64 v4, v18, v4, s1
	v_cmp_eq_u32_e64 s1, 0x40f, v13
	s_or_b32 vcc_lo, s0, vcc_lo
	v_and_b32_e32 v13, 7, v4
	v_cndmask_b32_e64 v6, v12, v6, s1
	v_lshrrev_b32_e32 v12, 2, v16
	v_lshrrev_b32_e32 v4, 2, v4
	v_cmp_gt_i32_e64 s1, 31, v20
	v_cmp_eq_u32_e64 s0, 3, v13
	v_and_or_b32 v6, 0x8000, v7, v6
	v_add_co_ci_u32_e32 v12, vcc_lo, 0, v12, vcc_lo
	v_cmp_ne_u32_e32 vcc_lo, 0, v10
	v_and_b32_e32 v7, 0xffff, v0
	v_cndmask_b32_e64 v12, 0x7c00, v12, s1
	v_cndmask_b32_e64 v10, 0, 1, vcc_lo
	v_cmp_lt_i32_e32 vcc_lo, 5, v13
	v_lshl_or_b32 v10, v10, 9, 0x7c00
	s_or_b32 vcc_lo, s0, vcc_lo
	v_add_co_ci_u32_e32 v4, vcc_lo, 0, v4, vcc_lo
	v_cmp_ne_u32_e32 vcc_lo, 0, v1
	v_cndmask_b32_e64 v1, 0, 1, vcc_lo
	v_cmp_eq_u32_e32 vcc_lo, 0x40f, v20
	v_lshl_or_b32 v1, v1, 9, 0x7c00
	v_cndmask_b32_e32 v10, v12, v10, vcc_lo
	v_cmp_gt_i32_e32 vcc_lo, 31, v19
	v_and_or_b32 v10, 0x8000, v11, v10
	v_cndmask_b32_e32 v4, 0x7c00, v4, vcc_lo
	v_cmp_eq_u32_e32 vcc_lo, 0x40f, v19
	v_lshl_or_b32 v11, v6, 16, v7
	v_and_b32_e32 v7, 0xffff, v10
	v_cndmask_b32_e32 v4, v4, v1, vcc_lo
	v_add_co_u32 v0, vcc_lo, v8, s3
	v_add_co_ci_u32_e32 v1, vcc_lo, s2, v9, vcc_lo
	v_and_or_b32 v6, 0x8000, v5, v4
	v_add_co_u32 v4, vcc_lo, v0, s3
	v_add_co_ci_u32_e32 v5, vcc_lo, s2, v1, vcc_lo
	v_lshl_or_b32 v10, v6, 16, v7
	v_add_co_u32 v6, vcc_lo, v4, s3
	v_add_co_ci_u32_e32 v7, vcc_lo, s2, v5, vcc_lo
	global_store_dword v[2:3], v15, off
	global_store_dword v[8:9], v14, off
	;; [unrolled: 1-line block ×5, first 2 shown]
.LBB0_10:
	s_endpgm
	.section	.rodata,"a",@progbits
	.p2align	6, 0x0
	.amdhsa_kernel bluestein_single_back_len78_dim1_half_op_CI_CI
		.amdhsa_group_segment_fixed_size 5928
		.amdhsa_private_segment_fixed_size 0
		.amdhsa_kernarg_size 104
		.amdhsa_user_sgpr_count 6
		.amdhsa_user_sgpr_private_segment_buffer 1
		.amdhsa_user_sgpr_dispatch_ptr 0
		.amdhsa_user_sgpr_queue_ptr 0
		.amdhsa_user_sgpr_kernarg_segment_ptr 1
		.amdhsa_user_sgpr_dispatch_id 0
		.amdhsa_user_sgpr_flat_scratch_init 0
		.amdhsa_user_sgpr_private_segment_size 0
		.amdhsa_wavefront_size32 1
		.amdhsa_uses_dynamic_stack 0
		.amdhsa_system_sgpr_private_segment_wavefront_offset 0
		.amdhsa_system_sgpr_workgroup_id_x 1
		.amdhsa_system_sgpr_workgroup_id_y 0
		.amdhsa_system_sgpr_workgroup_id_z 0
		.amdhsa_system_sgpr_workgroup_info 0
		.amdhsa_system_vgpr_workitem_id 0
		.amdhsa_next_free_vgpr 201
		.amdhsa_next_free_sgpr 20
		.amdhsa_reserve_vcc 1
		.amdhsa_reserve_flat_scratch 0
		.amdhsa_float_round_mode_32 0
		.amdhsa_float_round_mode_16_64 0
		.amdhsa_float_denorm_mode_32 3
		.amdhsa_float_denorm_mode_16_64 3
		.amdhsa_dx10_clamp 1
		.amdhsa_ieee_mode 1
		.amdhsa_fp16_overflow 0
		.amdhsa_workgroup_processor_mode 1
		.amdhsa_memory_ordered 1
		.amdhsa_forward_progress 0
		.amdhsa_shared_vgpr_count 0
		.amdhsa_exception_fp_ieee_invalid_op 0
		.amdhsa_exception_fp_denorm_src 0
		.amdhsa_exception_fp_ieee_div_zero 0
		.amdhsa_exception_fp_ieee_overflow 0
		.amdhsa_exception_fp_ieee_underflow 0
		.amdhsa_exception_fp_ieee_inexact 0
		.amdhsa_exception_int_div_zero 0
	.end_amdhsa_kernel
	.text
.Lfunc_end0:
	.size	bluestein_single_back_len78_dim1_half_op_CI_CI, .Lfunc_end0-bluestein_single_back_len78_dim1_half_op_CI_CI
                                        ; -- End function
	.section	.AMDGPU.csdata,"",@progbits
; Kernel info:
; codeLenInByte = 12464
; NumSgprs: 22
; NumVgprs: 201
; ScratchSize: 0
; MemoryBound: 0
; FloatMode: 240
; IeeeMode: 1
; LDSByteSize: 5928 bytes/workgroup (compile time only)
; SGPRBlocks: 2
; VGPRBlocks: 25
; NumSGPRsForWavesPerEU: 22
; NumVGPRsForWavesPerEU: 201
; Occupancy: 4
; WaveLimiterHint : 1
; COMPUTE_PGM_RSRC2:SCRATCH_EN: 0
; COMPUTE_PGM_RSRC2:USER_SGPR: 6
; COMPUTE_PGM_RSRC2:TRAP_HANDLER: 0
; COMPUTE_PGM_RSRC2:TGID_X_EN: 1
; COMPUTE_PGM_RSRC2:TGID_Y_EN: 0
; COMPUTE_PGM_RSRC2:TGID_Z_EN: 0
; COMPUTE_PGM_RSRC2:TIDIG_COMP_CNT: 0
	.text
	.p2alignl 6, 3214868480
	.fill 48, 4, 3214868480
	.type	__hip_cuid_27b9b91f17c18c32,@object ; @__hip_cuid_27b9b91f17c18c32
	.section	.bss,"aw",@nobits
	.globl	__hip_cuid_27b9b91f17c18c32
__hip_cuid_27b9b91f17c18c32:
	.byte	0                               ; 0x0
	.size	__hip_cuid_27b9b91f17c18c32, 1

	.ident	"AMD clang version 19.0.0git (https://github.com/RadeonOpenCompute/llvm-project roc-6.4.0 25133 c7fe45cf4b819c5991fe208aaa96edf142730f1d)"
	.section	".note.GNU-stack","",@progbits
	.addrsig
	.addrsig_sym __hip_cuid_27b9b91f17c18c32
	.amdgpu_metadata
---
amdhsa.kernels:
  - .args:
      - .actual_access:  read_only
        .address_space:  global
        .offset:         0
        .size:           8
        .value_kind:     global_buffer
      - .actual_access:  read_only
        .address_space:  global
        .offset:         8
        .size:           8
        .value_kind:     global_buffer
      - .actual_access:  read_only
        .address_space:  global
        .offset:         16
        .size:           8
        .value_kind:     global_buffer
      - .actual_access:  read_only
        .address_space:  global
        .offset:         24
        .size:           8
        .value_kind:     global_buffer
      - .actual_access:  read_only
        .address_space:  global
        .offset:         32
        .size:           8
        .value_kind:     global_buffer
      - .offset:         40
        .size:           8
        .value_kind:     by_value
      - .address_space:  global
        .offset:         48
        .size:           8
        .value_kind:     global_buffer
      - .address_space:  global
        .offset:         56
        .size:           8
        .value_kind:     global_buffer
      - .address_space:  global
        .offset:         64
        .size:           8
        .value_kind:     global_buffer
      - .address_space:  global
        .offset:         72
        .size:           8
        .value_kind:     global_buffer
      - .offset:         80
        .size:           4
        .value_kind:     by_value
      - .address_space:  global
        .offset:         88
        .size:           8
        .value_kind:     global_buffer
      - .address_space:  global
        .offset:         96
        .size:           8
        .value_kind:     global_buffer
    .group_segment_fixed_size: 5928
    .kernarg_segment_align: 8
    .kernarg_segment_size: 104
    .language:       OpenCL C
    .language_version:
      - 2
      - 0
    .max_flat_workgroup_size: 247
    .name:           bluestein_single_back_len78_dim1_half_op_CI_CI
    .private_segment_fixed_size: 0
    .sgpr_count:     22
    .sgpr_spill_count: 0
    .symbol:         bluestein_single_back_len78_dim1_half_op_CI_CI.kd
    .uniform_work_group_size: 1
    .uses_dynamic_stack: false
    .vgpr_count:     201
    .vgpr_spill_count: 0
    .wavefront_size: 32
    .workgroup_processor_mode: 1
amdhsa.target:   amdgcn-amd-amdhsa--gfx1030
amdhsa.version:
  - 1
  - 2
...

	.end_amdgpu_metadata
